;; amdgpu-corpus repo=ROCm/rocFFT kind=compiled arch=gfx1201 opt=O3
	.text
	.amdgcn_target "amdgcn-amd-amdhsa--gfx1201"
	.amdhsa_code_object_version 6
	.protected	fft_rtc_fwd_len2002_factors_2_13_7_11_wgs_182_tpt_182_halfLds_sp_op_CI_CI_unitstride_sbrr_dirReg ; -- Begin function fft_rtc_fwd_len2002_factors_2_13_7_11_wgs_182_tpt_182_halfLds_sp_op_CI_CI_unitstride_sbrr_dirReg
	.globl	fft_rtc_fwd_len2002_factors_2_13_7_11_wgs_182_tpt_182_halfLds_sp_op_CI_CI_unitstride_sbrr_dirReg
	.p2align	8
	.type	fft_rtc_fwd_len2002_factors_2_13_7_11_wgs_182_tpt_182_halfLds_sp_op_CI_CI_unitstride_sbrr_dirReg,@function
fft_rtc_fwd_len2002_factors_2_13_7_11_wgs_182_tpt_182_halfLds_sp_op_CI_CI_unitstride_sbrr_dirReg: ; @fft_rtc_fwd_len2002_factors_2_13_7_11_wgs_182_tpt_182_halfLds_sp_op_CI_CI_unitstride_sbrr_dirReg
; %bb.0:
	s_clause 0x2
	s_load_b128 s[8:11], s[0:1], 0x0
	s_load_b128 s[4:7], s[0:1], 0x58
	;; [unrolled: 1-line block ×3, first 2 shown]
	v_mul_u32_u24_e32 v1, 0x169, v0
	v_mov_b32_e32 v6, 0
	v_mov_b32_e32 v7, 0
	s_delay_alu instid0(VALU_DEP_3) | instskip(NEXT) | instid1(VALU_DEP_1)
	v_lshrrev_b32_e32 v1, 16, v1
	v_dual_mov_b32 v3, 0 :: v_dual_add_nc_u32 v8, ttmp9, v1
	s_delay_alu instid0(VALU_DEP_1) | instskip(SKIP_2) | instid1(VALU_DEP_1)
	v_mov_b32_e32 v9, v3
	s_wait_kmcnt 0x0
	v_cmp_lt_u64_e64 s2, s[10:11], 2
	s_and_b32 vcc_lo, exec_lo, s2
	s_cbranch_vccnz .LBB0_8
; %bb.1:
	s_load_b64 s[2:3], s[0:1], 0x10
	v_mov_b32_e32 v6, 0
	v_mov_b32_e32 v7, 0
	s_delay_alu instid0(VALU_DEP_2)
	v_mov_b32_e32 v1, v6
	s_add_nc_u64 s[16:17], s[14:15], 8
	s_add_nc_u64 s[18:19], s[12:13], 8
	s_mov_b64 s[20:21], 1
	v_mov_b32_e32 v2, v7
	s_wait_kmcnt 0x0
	s_add_nc_u64 s[22:23], s[2:3], 8
	s_mov_b32 s3, 0
.LBB0_2:                                ; =>This Inner Loop Header: Depth=1
	s_load_b64 s[24:25], s[22:23], 0x0
	s_wait_kmcnt 0x0
	s_delay_alu instid0(VALU_DEP_1) | instskip(NEXT) | instid1(VALU_DEP_1)
	v_or_b32_e32 v4, s25, v9
	v_cmp_ne_u64_e32 vcc_lo, 0, v[3:4]
                                        ; implicit-def: $vgpr4_vgpr5
	s_and_saveexec_b32 s2, vcc_lo
	s_wait_alu 0xfffe
	s_xor_b32 s26, exec_lo, s2
	s_cbranch_execz .LBB0_4
; %bb.3:                                ;   in Loop: Header=BB0_2 Depth=1
	s_cvt_f32_u32 s2, s24
	s_cvt_f32_u32 s27, s25
	s_sub_nc_u64 s[30:31], 0, s[24:25]
	s_wait_alu 0xfffe
	s_delay_alu instid0(SALU_CYCLE_1) | instskip(SKIP_1) | instid1(SALU_CYCLE_2)
	s_fmamk_f32 s2, s27, 0x4f800000, s2
	s_wait_alu 0xfffe
	v_s_rcp_f32 s2, s2
	s_delay_alu instid0(TRANS32_DEP_1) | instskip(SKIP_1) | instid1(SALU_CYCLE_2)
	s_mul_f32 s2, s2, 0x5f7ffffc
	s_wait_alu 0xfffe
	s_mul_f32 s27, s2, 0x2f800000
	s_wait_alu 0xfffe
	s_delay_alu instid0(SALU_CYCLE_2) | instskip(SKIP_1) | instid1(SALU_CYCLE_2)
	s_trunc_f32 s27, s27
	s_wait_alu 0xfffe
	s_fmamk_f32 s2, s27, 0xcf800000, s2
	s_cvt_u32_f32 s29, s27
	s_wait_alu 0xfffe
	s_delay_alu instid0(SALU_CYCLE_1) | instskip(SKIP_1) | instid1(SALU_CYCLE_2)
	s_cvt_u32_f32 s28, s2
	s_wait_alu 0xfffe
	s_mul_u64 s[34:35], s[30:31], s[28:29]
	s_wait_alu 0xfffe
	s_mul_hi_u32 s37, s28, s35
	s_mul_i32 s36, s28, s35
	s_mul_hi_u32 s2, s28, s34
	s_mul_i32 s33, s29, s34
	s_wait_alu 0xfffe
	s_add_nc_u64 s[36:37], s[2:3], s[36:37]
	s_mul_hi_u32 s27, s29, s34
	s_mul_hi_u32 s38, s29, s35
	s_add_co_u32 s2, s36, s33
	s_wait_alu 0xfffe
	s_add_co_ci_u32 s2, s37, s27
	s_mul_i32 s34, s29, s35
	s_add_co_ci_u32 s35, s38, 0
	s_wait_alu 0xfffe
	s_add_nc_u64 s[34:35], s[2:3], s[34:35]
	s_wait_alu 0xfffe
	v_add_co_u32 v4, s2, s28, s34
	s_delay_alu instid0(VALU_DEP_1) | instskip(SKIP_1) | instid1(VALU_DEP_1)
	s_cmp_lg_u32 s2, 0
	s_add_co_ci_u32 s29, s29, s35
	v_readfirstlane_b32 s28, v4
	s_wait_alu 0xfffe
	s_delay_alu instid0(VALU_DEP_1)
	s_mul_u64 s[30:31], s[30:31], s[28:29]
	s_wait_alu 0xfffe
	s_mul_hi_u32 s35, s28, s31
	s_mul_i32 s34, s28, s31
	s_mul_hi_u32 s2, s28, s30
	s_mul_i32 s33, s29, s30
	s_wait_alu 0xfffe
	s_add_nc_u64 s[34:35], s[2:3], s[34:35]
	s_mul_hi_u32 s27, s29, s30
	s_mul_hi_u32 s28, s29, s31
	s_wait_alu 0xfffe
	s_add_co_u32 s2, s34, s33
	s_add_co_ci_u32 s2, s35, s27
	s_mul_i32 s30, s29, s31
	s_add_co_ci_u32 s31, s28, 0
	s_wait_alu 0xfffe
	s_add_nc_u64 s[30:31], s[2:3], s[30:31]
	s_wait_alu 0xfffe
	v_add_co_u32 v10, s2, v4, s30
	s_delay_alu instid0(VALU_DEP_1) | instskip(SKIP_1) | instid1(VALU_DEP_1)
	s_cmp_lg_u32 s2, 0
	s_add_co_ci_u32 s2, s29, s31
	v_mul_hi_u32 v14, v8, v10
	s_wait_alu 0xfffe
	v_mad_co_u64_u32 v[4:5], null, v8, s2, 0
	v_mad_co_u64_u32 v[10:11], null, v9, v10, 0
	;; [unrolled: 1-line block ×3, first 2 shown]
	s_delay_alu instid0(VALU_DEP_3) | instskip(SKIP_1) | instid1(VALU_DEP_4)
	v_add_co_u32 v4, vcc_lo, v14, v4
	s_wait_alu 0xfffd
	v_add_co_ci_u32_e32 v5, vcc_lo, 0, v5, vcc_lo
	s_delay_alu instid0(VALU_DEP_2) | instskip(SKIP_1) | instid1(VALU_DEP_2)
	v_add_co_u32 v4, vcc_lo, v4, v10
	s_wait_alu 0xfffd
	v_add_co_ci_u32_e32 v4, vcc_lo, v5, v11, vcc_lo
	s_wait_alu 0xfffd
	v_add_co_ci_u32_e32 v5, vcc_lo, 0, v13, vcc_lo
	s_delay_alu instid0(VALU_DEP_2) | instskip(SKIP_1) | instid1(VALU_DEP_2)
	v_add_co_u32 v10, vcc_lo, v4, v12
	s_wait_alu 0xfffd
	v_add_co_ci_u32_e32 v11, vcc_lo, 0, v5, vcc_lo
	s_delay_alu instid0(VALU_DEP_2) | instskip(SKIP_1) | instid1(VALU_DEP_3)
	v_mul_lo_u32 v12, s25, v10
	v_mad_co_u64_u32 v[4:5], null, s24, v10, 0
	v_mul_lo_u32 v13, s24, v11
	s_delay_alu instid0(VALU_DEP_2) | instskip(NEXT) | instid1(VALU_DEP_2)
	v_sub_co_u32 v4, vcc_lo, v8, v4
	v_add3_u32 v5, v5, v13, v12
	s_delay_alu instid0(VALU_DEP_1) | instskip(SKIP_1) | instid1(VALU_DEP_1)
	v_sub_nc_u32_e32 v12, v9, v5
	s_wait_alu 0xfffd
	v_subrev_co_ci_u32_e64 v12, s2, s25, v12, vcc_lo
	v_add_co_u32 v13, s2, v10, 2
	s_wait_alu 0xf1ff
	v_add_co_ci_u32_e64 v14, s2, 0, v11, s2
	v_sub_co_u32 v15, s2, v4, s24
	v_sub_co_ci_u32_e32 v5, vcc_lo, v9, v5, vcc_lo
	s_wait_alu 0xf1ff
	v_subrev_co_ci_u32_e64 v12, s2, 0, v12, s2
	s_delay_alu instid0(VALU_DEP_3) | instskip(NEXT) | instid1(VALU_DEP_3)
	v_cmp_le_u32_e32 vcc_lo, s24, v15
	v_cmp_eq_u32_e64 s2, s25, v5
	s_wait_alu 0xfffd
	v_cndmask_b32_e64 v15, 0, -1, vcc_lo
	v_cmp_le_u32_e32 vcc_lo, s25, v12
	s_wait_alu 0xfffd
	v_cndmask_b32_e64 v16, 0, -1, vcc_lo
	v_cmp_le_u32_e32 vcc_lo, s24, v4
	;; [unrolled: 3-line block ×3, first 2 shown]
	s_wait_alu 0xfffd
	v_cndmask_b32_e64 v17, 0, -1, vcc_lo
	v_cmp_eq_u32_e32 vcc_lo, s25, v12
	s_wait_alu 0xf1ff
	s_delay_alu instid0(VALU_DEP_2)
	v_cndmask_b32_e64 v4, v17, v4, s2
	s_wait_alu 0xfffd
	v_cndmask_b32_e32 v12, v16, v15, vcc_lo
	v_add_co_u32 v15, vcc_lo, v10, 1
	s_wait_alu 0xfffd
	v_add_co_ci_u32_e32 v16, vcc_lo, 0, v11, vcc_lo
	s_delay_alu instid0(VALU_DEP_3) | instskip(SKIP_1) | instid1(VALU_DEP_2)
	v_cmp_ne_u32_e32 vcc_lo, 0, v12
	s_wait_alu 0xfffd
	v_dual_cndmask_b32 v5, v16, v14 :: v_dual_cndmask_b32 v12, v15, v13
	v_cmp_ne_u32_e32 vcc_lo, 0, v4
	s_wait_alu 0xfffd
	s_delay_alu instid0(VALU_DEP_2)
	v_dual_cndmask_b32 v5, v11, v5 :: v_dual_cndmask_b32 v4, v10, v12
.LBB0_4:                                ;   in Loop: Header=BB0_2 Depth=1
	s_wait_alu 0xfffe
	s_and_not1_saveexec_b32 s2, s26
	s_cbranch_execz .LBB0_6
; %bb.5:                                ;   in Loop: Header=BB0_2 Depth=1
	v_cvt_f32_u32_e32 v4, s24
	s_sub_co_i32 s26, 0, s24
	s_delay_alu instid0(VALU_DEP_1) | instskip(NEXT) | instid1(TRANS32_DEP_1)
	v_rcp_iflag_f32_e32 v4, v4
	v_mul_f32_e32 v4, 0x4f7ffffe, v4
	s_delay_alu instid0(VALU_DEP_1) | instskip(SKIP_1) | instid1(VALU_DEP_1)
	v_cvt_u32_f32_e32 v4, v4
	s_wait_alu 0xfffe
	v_mul_lo_u32 v5, s26, v4
	s_delay_alu instid0(VALU_DEP_1) | instskip(NEXT) | instid1(VALU_DEP_1)
	v_mul_hi_u32 v5, v4, v5
	v_add_nc_u32_e32 v4, v4, v5
	s_delay_alu instid0(VALU_DEP_1) | instskip(NEXT) | instid1(VALU_DEP_1)
	v_mul_hi_u32 v4, v8, v4
	v_mul_lo_u32 v5, v4, s24
	v_add_nc_u32_e32 v10, 1, v4
	s_delay_alu instid0(VALU_DEP_2) | instskip(NEXT) | instid1(VALU_DEP_1)
	v_sub_nc_u32_e32 v5, v8, v5
	v_subrev_nc_u32_e32 v11, s24, v5
	v_cmp_le_u32_e32 vcc_lo, s24, v5
	s_wait_alu 0xfffd
	s_delay_alu instid0(VALU_DEP_2) | instskip(NEXT) | instid1(VALU_DEP_1)
	v_dual_cndmask_b32 v5, v5, v11 :: v_dual_cndmask_b32 v4, v4, v10
	v_cmp_le_u32_e32 vcc_lo, s24, v5
	s_delay_alu instid0(VALU_DEP_2) | instskip(SKIP_1) | instid1(VALU_DEP_1)
	v_dual_mov_b32 v5, v3 :: v_dual_add_nc_u32 v10, 1, v4
	s_wait_alu 0xfffd
	v_cndmask_b32_e32 v4, v4, v10, vcc_lo
.LBB0_6:                                ;   in Loop: Header=BB0_2 Depth=1
	s_wait_alu 0xfffe
	s_or_b32 exec_lo, exec_lo, s2
	v_mul_lo_u32 v12, v5, s24
	s_delay_alu instid0(VALU_DEP_2)
	v_mul_lo_u32 v13, v4, s25
	s_load_b64 s[26:27], s[18:19], 0x0
	v_mad_co_u64_u32 v[10:11], null, v4, s24, 0
	s_load_b64 s[24:25], s[16:17], 0x0
	s_add_nc_u64 s[20:21], s[20:21], 1
	s_add_nc_u64 s[16:17], s[16:17], 8
	s_wait_alu 0xfffe
	v_cmp_ge_u64_e64 s2, s[20:21], s[10:11]
	s_add_nc_u64 s[18:19], s[18:19], 8
	s_add_nc_u64 s[22:23], s[22:23], 8
	v_add3_u32 v11, v11, v13, v12
	v_sub_co_u32 v8, vcc_lo, v8, v10
	s_wait_alu 0xfffd
	s_delay_alu instid0(VALU_DEP_2) | instskip(SKIP_2) | instid1(VALU_DEP_1)
	v_sub_co_ci_u32_e32 v9, vcc_lo, v9, v11, vcc_lo
	s_and_b32 vcc_lo, exec_lo, s2
	s_wait_kmcnt 0x0
	v_mul_lo_u32 v10, s26, v9
	v_mul_lo_u32 v11, s27, v8
	v_mad_co_u64_u32 v[6:7], null, s26, v8, v[6:7]
	v_mul_lo_u32 v9, s24, v9
	v_mul_lo_u32 v12, s25, v8
	v_mad_co_u64_u32 v[1:2], null, s24, v8, v[1:2]
	s_delay_alu instid0(VALU_DEP_4) | instskip(NEXT) | instid1(VALU_DEP_2)
	v_add3_u32 v7, v11, v7, v10
	v_add3_u32 v2, v12, v2, v9
	s_wait_alu 0xfffe
	s_cbranch_vccnz .LBB0_9
; %bb.7:                                ;   in Loop: Header=BB0_2 Depth=1
	v_dual_mov_b32 v9, v5 :: v_dual_mov_b32 v8, v4
	s_branch .LBB0_2
.LBB0_8:
	v_dual_mov_b32 v1, v6 :: v_dual_mov_b32 v2, v7
	v_dual_mov_b32 v4, v8 :: v_dual_mov_b32 v5, v9
.LBB0_9:
	s_load_b64 s[0:1], s[0:1], 0x28
	v_mul_hi_u32 v8, 0x1681682, v0
	s_lshl_b64 s[10:11], s[10:11], 3
                                        ; implicit-def: $vgpr44
	s_wait_alu 0xfffe
	s_add_nc_u64 s[2:3], s[14:15], s[10:11]
                                        ; implicit-def: $sgpr14
                                        ; implicit-def: $sgpr15
	s_wait_kmcnt 0x0
	v_cmp_gt_u64_e32 vcc_lo, s[0:1], v[4:5]
	v_cmp_le_u64_e64 s0, s[0:1], v[4:5]
	s_delay_alu instid0(VALU_DEP_1)
	s_and_saveexec_b32 s1, s0
	s_wait_alu 0xfffe
	s_xor_b32 s0, exec_lo, s1
; %bb.10:
	v_mul_u32_u24_e32 v3, 0xb6, v8
	s_mov_b32 s15, 0
	s_mov_b32 s14, 0
                                        ; implicit-def: $vgpr8
                                        ; implicit-def: $vgpr6_vgpr7
	s_delay_alu instid0(VALU_DEP_1)
	v_sub_nc_u32_e32 v44, v0, v3
                                        ; implicit-def: $vgpr0
; %bb.11:
	s_wait_alu 0xfffe
	s_or_saveexec_b32 s1, s0
	s_load_b64 s[2:3], s[2:3], 0x0
	v_dual_mov_b32 v21, s15 :: v_dual_mov_b32 v20, s15
	v_mov_b32_e32 v3, s14
                                        ; implicit-def: $vgpr23
                                        ; implicit-def: $vgpr37
                                        ; implicit-def: $vgpr25
                                        ; implicit-def: $vgpr31
                                        ; implicit-def: $vgpr27
                                        ; implicit-def: $vgpr35
                                        ; implicit-def: $vgpr29
                                        ; implicit-def: $vgpr39
                                        ; implicit-def: $vgpr33
                                        ; implicit-def: $vgpr41
                                        ; implicit-def: $vgpr43
	s_xor_b32 exec_lo, exec_lo, s1
	s_cbranch_execz .LBB0_15
; %bb.12:
	s_add_nc_u64 s[10:11], s[12:13], s[10:11]
	v_lshlrev_b64_e32 v[6:7], 3, v[6:7]
	s_load_b64 s[10:11], s[10:11], 0x0
	v_mov_b32_e32 v20, 0
                                        ; implicit-def: $vgpr42
	v_mov_b32_e32 v21, 0
	s_wait_kmcnt 0x0
	v_mul_lo_u32 v3, s11, v4
	v_mul_lo_u32 v11, s10, v5
	v_mad_co_u64_u32 v[9:10], null, s10, v4, 0
	s_delay_alu instid0(VALU_DEP_1) | instskip(SKIP_1) | instid1(VALU_DEP_2)
	v_add3_u32 v10, v10, v11, v3
	v_mul_u32_u24_e32 v3, 0xb6, v8
	v_lshlrev_b64_e32 v[8:9], 3, v[9:10]
	s_delay_alu instid0(VALU_DEP_2) | instskip(NEXT) | instid1(VALU_DEP_2)
	v_sub_nc_u32_e32 v44, v0, v3
	v_add_co_u32 v0, s0, s4, v8
	s_wait_alu 0xf1ff
	s_delay_alu instid0(VALU_DEP_3) | instskip(NEXT) | instid1(VALU_DEP_3)
	v_add_co_ci_u32_e64 v3, s0, s5, v9, s0
	v_lshlrev_b32_e32 v8, 3, v44
	s_delay_alu instid0(VALU_DEP_3) | instskip(SKIP_1) | instid1(VALU_DEP_3)
	v_add_co_u32 v0, s0, v0, v6
	s_wait_alu 0xf1ff
	v_add_co_ci_u32_e64 v3, s0, v3, v7, s0
	s_mov_b32 s4, exec_lo
	s_delay_alu instid0(VALU_DEP_2) | instskip(SKIP_1) | instid1(VALU_DEP_2)
	v_add_co_u32 v6, s0, v0, v8
	s_wait_alu 0xf1ff
	v_add_co_ci_u32_e64 v7, s0, 0, v3, s0
	s_clause 0x9
	global_load_b64 v[30:31], v[6:7], off offset:9464
	global_load_b64 v[34:35], v[6:7], off offset:10920
	global_load_b64 v[22:23], v[6:7], off
	global_load_b64 v[24:25], v[6:7], off offset:1456
	global_load_b64 v[26:27], v[6:7], off offset:2912
	global_load_b64 v[28:29], v[6:7], off offset:4368
	global_load_b64 v[36:37], v[6:7], off offset:8008
	global_load_b64 v[32:33], v[6:7], off offset:5824
	global_load_b64 v[38:39], v[6:7], off offset:12376
	global_load_b64 v[40:41], v[6:7], off offset:13832
	v_cmpx_gt_u32_e32 0x5b, v44
; %bb.13:
	s_clause 0x1
	global_load_b64 v[20:21], v[6:7], off offset:7280
	global_load_b64 v[42:43], v[6:7], off offset:15288
; %bb.14:
	s_wait_alu 0xfffe
	s_or_b32 exec_lo, exec_lo, s4
	v_mov_b32_e32 v3, v44
.LBB0_15:
	s_or_b32 exec_lo, exec_lo, s1
	s_wait_loadcnt 0x3
	v_sub_f32_e32 v9, v22, v36
	v_sub_f32_e32 v19, v24, v30
	v_dual_sub_f32 v15, v26, v34 :: v_dual_add_nc_u32 v6, 0x38e, v44
	s_wait_loadcnt 0x1
	v_sub_f32_e32 v13, v28, v38
	s_wait_loadcnt 0x0
	v_sub_f32_e32 v17, v32, v40
	v_dual_sub_f32 v11, v20, v42 :: v_dual_add_nc_u32 v34, 0xb6, v44
	v_lshl_add_u32 v0, v44, 3, 0
	v_fma_f32 v8, v22, 2.0, -v9
	v_fma_f32 v18, v24, 2.0, -v19
	;; [unrolled: 1-line block ×6, first 2 shown]
	v_lshl_add_u32 v32, v34, 3, 0
	v_cmp_gt_u32_e64 s1, 0x5b, v44
	v_lshl_add_u32 v20, v6, 3, 0
	v_add_nc_u32_e32 v7, 0xa00, v0
	ds_store_b64 v0, v[8:9]
	ds_store_2addr_b64 v7, v[14:15], v[12:13] offset0:44 offset1:226
	ds_store_b64 v32, v[18:19]
	ds_store_b64 v0, v[16:17] offset:5824
	s_and_saveexec_b32 s0, s1
	s_cbranch_execz .LBB0_17
; %bb.16:
	ds_store_b64 v20, v[10:11]
.LBB0_17:
	s_wait_alu 0xfffe
	s_or_b32 exec_lo, exec_lo, s0
	v_add_nc_u32_e32 v40, 0xb60, v0
	v_add_nc_u32_e32 v38, 0x1110, v0
	;; [unrolled: 1-line block ×3, first 2 shown]
	v_cmp_gt_u32_e64 s0, 0x9a, v44
	global_wb scope:SCOPE_SE
	s_wait_dscnt 0x0
	s_wait_kmcnt 0x0
	s_barrier_signal -1
	s_barrier_wait -1
	global_inv scope:SCOPE_SE
                                        ; implicit-def: $vgpr48
	s_and_saveexec_b32 s4, s0
	s_cbranch_execz .LBB0_19
; %bb.18:
	v_lshlrev_b32_e32 v6, 2, v44
	s_delay_alu instid0(VALU_DEP_1) | instskip(NEXT) | instid1(VALU_DEP_1)
	v_sub_nc_u32_e32 v6, v0, v6
	v_add_nc_u32_e32 v7, 0x400, v6
	v_add_nc_u32_e32 v10, 0x900, v6
	;; [unrolled: 1-line block ×5, first 2 shown]
	ds_load_2addr_b32 v[8:9], v6 offset1:154
	ds_load_2addr_b32 v[18:19], v7 offset0:52 offset1:206
	ds_load_2addr_b32 v[14:15], v10 offset0:40 offset1:194
	;; [unrolled: 1-line block ×5, first 2 shown]
	ds_load_b32 v48, v6 offset:7392
.LBB0_19:
	s_wait_alu 0xfffe
	s_or_b32 exec_lo, exec_lo, s4
	v_dual_sub_f32 v7, v23, v37 :: v_dual_sub_f32 v26, v29, v39
	v_sub_f32_e32 v31, v25, v31
	v_sub_f32_e32 v28, v27, v35
	;; [unrolled: 1-line block ×4, first 2 shown]
	v_fma_f32 v6, v23, 2.0, -v7
	v_fma_f32 v30, v25, 2.0, -v31
	;; [unrolled: 1-line block ×6, first 2 shown]
	global_wb scope:SCOPE_SE
	s_wait_dscnt 0x0
	s_barrier_signal -1
	s_barrier_wait -1
	global_inv scope:SCOPE_SE
	ds_store_b64 v0, v[6:7]
	ds_store_b64 v32, v[30:31]
	;; [unrolled: 1-line block ×5, first 2 shown]
	s_and_saveexec_b32 s4, s1
	s_cbranch_execz .LBB0_21
; %bb.20:
	ds_store_b64 v20, v[21:22]
.LBB0_21:
	s_wait_alu 0xfffe
	s_or_b32 exec_lo, exec_lo, s4
	v_lshl_add_u32 v0, v44, 2, 0
	global_wb scope:SCOPE_SE
	s_wait_dscnt 0x0
	s_barrier_signal -1
	s_barrier_wait -1
	global_inv scope:SCOPE_SE
                                        ; implicit-def: $vgpr49
	s_and_saveexec_b32 s1, s0
	s_cbranch_execz .LBB0_23
; %bb.22:
	v_add_nc_u32_e32 v20, 0x400, v0
	v_add_nc_u32_e32 v21, 0x900, v0
	;; [unrolled: 1-line block ×5, first 2 shown]
	ds_load_2addr_b32 v[6:7], v0 offset1:154
	ds_load_2addr_b32 v[30:31], v20 offset0:52 offset1:206
	ds_load_2addr_b32 v[27:28], v21 offset0:40 offset1:194
	;; [unrolled: 1-line block ×5, first 2 shown]
	ds_load_b32 v49, v0 offset:7392
.LBB0_23:
	s_wait_alu 0xfffe
	s_or_b32 exec_lo, exec_lo, s1
	v_and_b32_e32 v20, 1, v44
	s_delay_alu instid0(VALU_DEP_1) | instskip(NEXT) | instid1(VALU_DEP_1)
	v_mul_u32_u24_e32 v29, 12, v20
	v_lshlrev_b32_e32 v29, 3, v29
	s_clause 0x5
	global_load_b128 v[50:53], v29, s[8:9]
	global_load_b128 v[54:57], v29, s[8:9] offset:16
	global_load_b128 v[58:61], v29, s[8:9] offset:32
	;; [unrolled: 1-line block ×5, first 2 shown]
	global_wb scope:SCOPE_SE
	s_wait_loadcnt_dscnt 0x0
	s_barrier_signal -1
	s_barrier_wait -1
	global_inv scope:SCOPE_SE
	v_dual_mul_f32 v43, v9, v51 :: v_dual_mul_f32 v46, v30, v53
	v_dual_mul_f32 v41, v19, v55 :: v_dual_mul_f32 v40, v14, v57
	;; [unrolled: 1-line block ×3, first 2 shown]
	v_mul_f32_e32 v51, v31, v55
	s_delay_alu instid0(VALU_DEP_3) | instskip(SKIP_3) | instid1(VALU_DEP_3)
	v_fmac_f32_e32 v41, v31, v54
	v_dual_mul_f32 v29, v48, v73 :: v_dual_mul_f32 v32, v11, v71
	v_fmac_f32_e32 v43, v7, v50
	v_dual_mul_f32 v53, v27, v57 :: v_dual_fmac_f32 v42, v30, v52
	v_fmac_f32_e32 v29, v49, v72
	v_dual_mul_f32 v55, v28, v59 :: v_dual_fmac_f32 v40, v27, v56
	v_dual_mul_f32 v39, v15, v59 :: v_dual_mul_f32 v38, v12, v61
	v_dual_mul_f32 v59, v26, v63 :: v_dual_mul_f32 v36, v16, v65
	v_mul_f32_e32 v57, v25, v61
	v_dual_mul_f32 v37, v13, v63 :: v_dual_fmac_f32 v32, v22, v70
	s_delay_alu instid0(VALU_DEP_4)
	v_dual_mul_f32 v61, v23, v65 :: v_dual_fmac_f32 v38, v25, v60
	v_fma_f32 v47, v9, v50, -v45
	v_fma_f32 v46, v18, v52, -v46
	v_mul_f32_e32 v65, v21, v69
	v_fma_f32 v45, v19, v54, -v51
	v_mul_f32_e32 v35, v10, v69
	v_sub_f32_e32 v7, v43, v29
	v_mul_f32_e32 v69, v49, v73
	v_dual_fmac_f32 v39, v28, v58 :: v_dual_fmac_f32 v36, v23, v64
	s_delay_alu instid0(VALU_DEP_3) | instskip(SKIP_1) | instid1(VALU_DEP_4)
	v_dual_sub_f32 v9, v42, v32 :: v_dual_mul_f32 v78, 0xbf29c268, v7
	v_mul_f32_e32 v33, v17, v67
	v_fma_f32 v48, v48, v72, -v69
	v_mul_f32_e32 v63, v24, v67
	s_delay_alu instid0(VALU_DEP_4) | instskip(SKIP_3) | instid1(VALU_DEP_4)
	v_dual_mul_f32 v67, v22, v71 :: v_dual_mul_f32 v82, 0x3eedf032, v9
	v_fma_f32 v30, v14, v56, -v53
	v_fma_f32 v14, v12, v60, -v57
	v_dual_sub_f32 v12, v39, v36 :: v_dual_fmac_f32 v33, v24, v66
	v_fma_f32 v31, v11, v70, -v67
	v_fma_f32 v18, v15, v58, -v55
	;; [unrolled: 1-line block ×3, first 2 shown]
	s_delay_alu instid0(VALU_DEP_4) | instskip(SKIP_3) | instid1(VALU_DEP_4)
	v_dual_mul_f32 v74, 0x3eedf032, v12 :: v_dual_sub_f32 v11, v40, v33
	v_dual_fmac_f32 v37, v26, v62 :: v_dual_add_f32 v62, v47, v48
	v_fma_f32 v27, v17, v66, -v63
	v_add_f32_e32 v66, v46, v31
	v_mul_f32_e32 v22, 0xbf6f5d39, v11
	v_fma_f32 v28, v10, v68, -v65
	v_dual_sub_f32 v13, v38, v37 :: v_dual_mul_f32 v80, 0x3f52af12, v11
	v_fma_f32 v19, v16, v64, -v61
	s_delay_alu instid0(VALU_DEP_3) | instskip(NEXT) | instid1(VALU_DEP_3)
	v_dual_add_f32 v65, v14, v15 :: v_dual_add_f32 v72, v45, v28
	v_dual_mul_f32 v54, 0xbf29c268, v13 :: v_dual_fmac_f32 v35, v21, v68
	v_mul_f32_e32 v68, 0xbf6f5d39, v7
	v_mul_f32_e32 v17, 0x3eedf032, v13
	;; [unrolled: 1-line block ×3, first 2 shown]
	v_dual_add_f32 v71, v30, v27 :: v_dual_mul_f32 v60, 0x3e750f2a, v12
	v_sub_f32_e32 v10, v41, v35
	v_dual_add_f32 v67, v18, v19 :: v_dual_mul_f32 v16, 0xbe750f2a, v13
	v_mul_f32_e32 v49, 0x3f7e222b, v12
	v_mul_f32_e32 v55, 0xbf52af12, v12
	s_delay_alu instid0(VALU_DEP_4)
	v_mul_f32_e32 v70, 0x3eedf032, v10
	v_mul_f32_e32 v24, 0xbeedf032, v7
	v_mul_f32_e32 v50, 0xbf52af12, v7
	v_mul_f32_e32 v63, 0xbf7e222b, v7
	v_mul_f32_e32 v58, 0x3f6f5d39, v10
	v_dual_mul_f32 v75, 0xbf6f5d39, v12 :: v_dual_mul_f32 v64, 0xbf6f5d39, v13
	v_fmamk_f32 v108, v65, 0x3f62ad3f, v17
	v_mul_f32_e32 v73, 0x3e750f2a, v11
	v_fmamk_f32 v110, v65, 0x3f116cb1, v61
	v_mul_f32_e32 v23, 0xbf29c268, v12
	;; [unrolled: 2-line block ×4, first 2 shown]
	v_mul_f32_e32 v76, 0xbf52af12, v10
	v_fmamk_f32 v91, v72, 0xbeb58ec6, v58
	v_mul_f32_e32 v57, 0xbe750f2a, v9
	v_fmamk_f32 v99, v71, 0xbf788fa5, v73
	;; [unrolled: 2-line block ×3, first 2 shown]
	v_mul_f32_e32 v81, 0xbf29c268, v10
	v_dual_fmamk_f32 v10, v62, 0x3df6dbef, v63 :: v_dual_add_f32 v7, v8, v7
	v_dual_fmamk_f32 v85, v66, 0xbf788fa5, v57 :: v_dual_fmamk_f32 v104, v67, 0xbf788fa5, v60
	v_mul_f32_e32 v56, 0x3eedf032, v11
	s_delay_alu instid0(VALU_DEP_3) | instskip(SKIP_2) | instid1(VALU_DEP_3)
	v_dual_add_f32 v10, v8, v10 :: v_dual_mul_f32 v25, 0xbf52af12, v9
	v_add_f32_e32 v12, v8, v12
	v_fmamk_f32 v93, v72, 0x3f116cb1, v76
	v_dual_fmamk_f32 v97, v71, 0x3f62ad3f, v56 :: v_dual_add_f32 v10, v85, v10
	s_delay_alu instid0(VALU_DEP_4) | instskip(SKIP_2) | instid1(VALU_DEP_4)
	v_fmamk_f32 v26, v66, 0x3f116cb1, v25
	v_mul_f32_e32 v79, 0x3f7e222b, v13
	v_dual_fmamk_f32 v13, v62, 0xbf788fa5, v83 :: v_dual_fmamk_f32 v90, v72, 0xbf788fa5, v52
	v_dual_add_f32 v10, v91, v10 :: v_dual_mul_f32 v77, 0x3f7e222b, v9
	v_fmamk_f32 v95, v71, 0xbeb58ec6, v22
	v_fmamk_f32 v103, v67, 0x3f116cb1, v55
	s_delay_alu instid0(VALU_DEP_3) | instskip(NEXT) | instid1(VALU_DEP_4)
	v_dual_fmamk_f32 v105, v67, 0x3f62ad3f, v74 :: v_dual_add_f32 v10, v97, v10
	v_fmamk_f32 v87, v66, 0x3df6dbef, v77
	v_mul_f32_e32 v51, 0xbf6f5d39, v9
	v_mul_f32_e32 v53, 0x3f29c268, v11
	v_fmamk_f32 v106, v67, 0xbeb58ec6, v75
	v_dual_fmamk_f32 v92, v72, 0x3f62ad3f, v70 :: v_dual_add_f32 v7, v26, v7
	v_dual_add_f32 v12, v87, v12 :: v_dual_mul_f32 v69, 0x3f29c268, v9
	v_fmamk_f32 v9, v62, 0x3f116cb1, v50
	v_fmamk_f32 v84, v66, 0xbeb58ec6, v51
	;; [unrolled: 1-line block ×3, first 2 shown]
	s_delay_alu instid0(VALU_DEP_4) | instskip(SKIP_2) | instid1(VALU_DEP_3)
	v_add_f32_e32 v12, v93, v12
	v_dual_fmamk_f32 v86, v66, 0xbf3f9e67, v69 :: v_dual_fmamk_f32 v109, v65, 0xbf3f9e67, v54
	v_dual_add_f32 v9, v8, v9 :: v_dual_fmamk_f32 v100, v71, 0x3f116cb1, v80
	v_dual_add_f32 v12, v99, v12 :: v_dual_mul_f32 v59, 0xbf7e222b, v11
	v_fmamk_f32 v11, v62, 0xbeb58ec6, v68
	s_delay_alu instid0(VALU_DEP_3) | instskip(SKIP_1) | instid1(VALU_DEP_3)
	v_dual_add_f32 v9, v84, v9 :: v_dual_add_f32 v84, v103, v10
	v_dual_fmamk_f32 v96, v71, 0xbf3f9e67, v53 :: v_dual_add_f32 v13, v8, v13
	v_add_f32_e32 v11, v8, v11
	s_delay_alu instid0(VALU_DEP_3)
	v_add_f32_e32 v9, v90, v9
	v_fmamk_f32 v89, v72, 0x3df6dbef, v21
	v_fmamk_f32 v107, v65, 0xbf788fa5, v16
	v_add_f32_e32 v13, v88, v13
	v_add_f32_e32 v11, v86, v11
	v_dual_add_f32 v9, v96, v9 :: v_dual_fmamk_f32 v112, v65, 0x3df6dbef, v79
	v_add_f32_e32 v86, v105, v12
	s_delay_alu instid0(VALU_DEP_3) | instskip(NEXT) | instid1(VALU_DEP_3)
	v_dual_fmamk_f32 v98, v71, 0x3df6dbef, v59 :: v_dual_add_f32 v11, v92, v11
	v_add_f32_e32 v26, v102, v9
	v_dual_fmamk_f32 v94, v72, 0xbf3f9e67, v81 :: v_dual_add_f32 v7, v89, v7
	v_fmamk_f32 v111, v65, 0xbeb58ec6, v64
	s_delay_alu instid0(VALU_DEP_3) | instskip(NEXT) | instid1(VALU_DEP_3)
	v_dual_add_f32 v11, v98, v11 :: v_dual_add_f32 v10, v108, v26
	v_add_f32_e32 v13, v94, v13
	s_delay_alu instid0(VALU_DEP_4) | instskip(SKIP_1) | instid1(VALU_DEP_4)
	v_add_f32_e32 v7, v95, v7
	v_lshrrev_b32_e32 v26, 1, v44
	v_add_f32_e32 v85, v104, v11
	v_add_f32_e32 v11, v109, v84
	v_add_f32_e32 v13, v100, v13
	s_delay_alu instid0(VALU_DEP_3) | instskip(NEXT) | instid1(VALU_DEP_2)
	v_dual_add_f32 v12, v110, v85 :: v_dual_fmamk_f32 v101, v67, 0xbf3f9e67, v23
	v_add_f32_e32 v87, v106, v13
	v_add_f32_e32 v13, v111, v86
	s_delay_alu instid0(VALU_DEP_3) | instskip(NEXT) | instid1(VALU_DEP_1)
	v_add_f32_e32 v7, v101, v7
	v_add_f32_e32 v9, v107, v7
	s_delay_alu instid0(VALU_DEP_4)
	v_add_f32_e32 v7, v112, v87
	s_and_saveexec_b32 s1, s0
	s_cbranch_execz .LBB0_25
; %bb.24:
	v_dual_mul_f32 v88, 0xbf3f9e67, v62 :: v_dual_mul_f32 v103, 0xbf3f9e67, v67
	v_dual_mul_f32 v84, 0x3f62ad3f, v62 :: v_dual_mul_f32 v97, 0x3f62ad3f, v72
	;; [unrolled: 1-line block ×3, first 2 shown]
	v_mul_f32_e32 v86, 0x3df6dbef, v62
	v_dual_mul_f32 v87, 0xbeb58ec6, v62 :: v_dual_mul_f32 v96, 0xbeb58ec6, v72
	v_dual_mul_f32 v62, 0xbf788fa5, v62 :: v_dual_mul_f32 v95, 0xbf788fa5, v72
	v_dual_mul_f32 v93, 0x3df6dbef, v66 :: v_dual_mul_f32 v94, 0x3df6dbef, v72
	v_sub_f32_e32 v78, v88, v78
	s_delay_alu instid0(VALU_DEP_3)
	v_dual_mul_f32 v89, 0x3f116cb1, v66 :: v_dual_sub_f32 v62, v62, v83
	v_dual_mul_f32 v90, 0xbeb58ec6, v66 :: v_dual_mul_f32 v99, 0xbeb58ec6, v71
	v_dual_mul_f32 v91, 0xbf788fa5, v66 :: v_dual_mul_f32 v102, 0xbf788fa5, v71
	v_dual_mul_f32 v92, 0xbf3f9e67, v66 :: v_dual_sub_f32 v77, v93, v77
	v_dual_mul_f32 v66, 0x3f62ad3f, v66 :: v_dual_mul_f32 v101, 0x3f62ad3f, v71
	v_add_f32_e32 v78, v8, v78
	v_mul_f32_e32 v72, 0xbf3f9e67, v72
	v_mul_f32_e32 v100, 0xbf3f9e67, v71
	;; [unrolled: 1-line block ×3, first 2 shown]
	v_dual_mul_f32 v71, 0x3f116cb1, v71 :: v_dual_add_f32 v62, v8, v62
	v_sub_f32_e32 v66, v66, v82
	v_dual_add_f32 v77, v77, v78 :: v_dual_mul_f32 v78, 0x3f116cb1, v65
	v_dual_sub_f32 v63, v86, v63 :: v_dual_sub_f32 v68, v87, v68
	v_dual_mul_f32 v104, 0x3f116cb1, v67 :: v_dual_sub_f32 v73, v102, v73
	v_dual_mul_f32 v88, 0xbf788fa5, v67 :: v_dual_sub_f32 v69, v92, v69
	v_dual_add_f32 v62, v66, v62 :: v_dual_mul_f32 v93, 0x3f62ad3f, v65
	v_sub_f32_e32 v76, v98, v76
	v_mul_f32_e32 v82, 0x3df6dbef, v67
	v_sub_f32_e32 v59, v83, v59
	v_add_f32_e32 v63, v8, v63
	v_add_f32_e32 v68, v8, v68
	v_mul_f32_e32 v66, 0x3f62ad3f, v67
	v_dual_mul_f32 v67, 0xbeb58ec6, v67 :: v_dual_sub_f32 v72, v72, v81
	v_sub_f32_e32 v71, v71, v80
	v_dual_sub_f32 v57, v91, v57 :: v_dual_sub_f32 v60, v88, v60
	s_delay_alu instid0(VALU_DEP_3) | instskip(SKIP_1) | instid1(VALU_DEP_3)
	v_dual_sub_f32 v67, v67, v75 :: v_dual_add_f32 v62, v72, v62
	v_sub_f32_e32 v50, v85, v50
	v_add_f32_e32 v57, v57, v63
	v_mul_f32_e32 v81, 0xbf788fa5, v65
	v_mul_f32_e32 v72, 0xbf3f9e67, v65
	v_add_f32_e32 v62, v71, v62
	v_dual_sub_f32 v24, v84, v24 :: v_dual_sub_f32 v51, v90, v51
	v_sub_f32_e32 v21, v94, v21
	s_delay_alu instid0(VALU_DEP_3)
	v_dual_sub_f32 v17, v93, v17 :: v_dual_add_f32 v62, v67, v62
	v_add_f32_e32 v67, v69, v68
	v_add_f32_e32 v69, v8, v47
	;; [unrolled: 1-line block ×3, first 2 shown]
	v_dual_sub_f32 v58, v96, v58 :: v_dual_sub_f32 v49, v82, v49
	v_sub_f32_e32 v68, v97, v70
	s_delay_alu instid0(VALU_DEP_3) | instskip(NEXT) | instid1(VALU_DEP_3)
	v_dual_add_f32 v50, v8, v50 :: v_dual_add_f32 v71, v73, v71
	v_add_f32_e32 v57, v58, v57
	s_delay_alu instid0(VALU_DEP_3) | instskip(SKIP_2) | instid1(VALU_DEP_3)
	v_dual_mul_f32 v80, 0xbeb58ec6, v65 :: v_dual_add_f32 v67, v68, v67
	v_dual_sub_f32 v66, v66, v74 :: v_dual_mul_f32 v65, 0x3df6dbef, v65
	v_add_f32_e32 v68, v69, v46
	v_dual_sub_f32 v64, v80, v64 :: v_dual_add_f32 v59, v59, v67
	s_delay_alu instid0(VALU_DEP_3) | instskip(NEXT) | instid1(VALU_DEP_4)
	v_add_f32_e32 v66, v66, v71
	v_dual_sub_f32 v65, v65, v79 :: v_dual_add_f32 v8, v8, v24
	v_sub_f32_e32 v24, v89, v25
	v_add_f32_e32 v50, v51, v50
	s_delay_alu instid0(VALU_DEP_4) | instskip(SKIP_3) | instid1(VALU_DEP_3)
	v_dual_sub_f32 v51, v95, v52 :: v_dual_add_f32 v64, v64, v66
	v_add_f32_e32 v66, v68, v45
	v_dual_add_f32 v59, v60, v59 :: v_dual_sub_f32 v60, v78, v61
	v_add_f32_e32 v8, v24, v8
	v_dual_sub_f32 v16, v81, v16 :: v_dual_add_f32 v61, v66, v30
	s_delay_alu instid0(VALU_DEP_2) | instskip(NEXT) | instid1(VALU_DEP_2)
	v_dual_add_f32 v8, v21, v8 :: v_dual_sub_f32 v21, v99, v22
	v_add_f32_e32 v58, v61, v18
	s_delay_alu instid0(VALU_DEP_2) | instskip(NEXT) | instid1(VALU_DEP_2)
	v_dual_add_f32 v8, v21, v8 :: v_dual_sub_f32 v21, v103, v23
	v_add_f32_e32 v25, v58, v14
	s_delay_alu instid0(VALU_DEP_2) | instskip(NEXT) | instid1(VALU_DEP_2)
	v_dual_sub_f32 v23, v72, v54 :: v_dual_add_f32 v8, v21, v8
	v_add_f32_e32 v24, v25, v15
	v_sub_f32_e32 v25, v104, v55
	s_delay_alu instid0(VALU_DEP_3) | instskip(NEXT) | instid1(VALU_DEP_3)
	v_add_f32_e32 v8, v16, v8
	v_add_f32_e32 v24, v24, v19
	s_delay_alu instid0(VALU_DEP_1) | instskip(NEXT) | instid1(VALU_DEP_1)
	v_add_f32_e32 v24, v24, v27
	v_add_f32_e32 v24, v24, v28
	s_delay_alu instid0(VALU_DEP_1) | instskip(SKIP_1) | instid1(VALU_DEP_2)
	v_dual_add_f32 v21, v24, v31 :: v_dual_add_f32 v50, v51, v50
	v_dual_sub_f32 v51, v100, v53 :: v_dual_sub_f32 v56, v101, v56
	v_add_f32_e32 v16, v21, v48
	s_delay_alu instid0(VALU_DEP_2) | instskip(NEXT) | instid1(VALU_DEP_1)
	v_add_f32_e32 v56, v56, v57
	v_add_f32_e32 v22, v25, v56
	s_delay_alu instid0(VALU_DEP_1) | instskip(SKIP_2) | instid1(VALU_DEP_2)
	v_dual_add_f32 v22, v23, v22 :: v_dual_add_f32 v23, v60, v59
	v_add_f32_e32 v25, v51, v50
	v_mul_u32_u24_e32 v50, 26, v26
	v_add_f32_e32 v25, v49, v25
	s_delay_alu instid0(VALU_DEP_2) | instskip(NEXT) | instid1(VALU_DEP_2)
	v_or_b32_e32 v24, v50, v20
	v_add_f32_e32 v17, v17, v25
	s_delay_alu instid0(VALU_DEP_2)
	v_lshl_add_u32 v21, v24, 2, 0
	v_add_f32_e32 v24, v65, v62
	ds_store_2addr_b32 v21, v16, v8 offset1:2
	ds_store_2addr_b32 v21, v17, v22 offset0:4 offset1:6
	ds_store_2addr_b32 v21, v23, v64 offset0:8 offset1:10
	;; [unrolled: 1-line block ×5, first 2 shown]
	ds_store_b32 v21, v9 offset:96
.LBB0_25:
	s_wait_alu 0xfffe
	s_or_b32 exec_lo, exec_lo, s1
	global_wb scope:SCOPE_SE
	s_wait_dscnt 0x0
	s_barrier_signal -1
	s_barrier_wait -1
	global_inv scope:SCOPE_SE
	ds_load_b32 v8, v0
	ds_load_b32 v25, v0 offset:1144
	ds_load_b32 v24, v0 offset:2288
	;; [unrolled: 1-line block ×6, first 2 shown]
	v_cmp_gt_u32_e64 s1, 0x68, v44
                                        ; implicit-def: $vgpr16
	s_delay_alu instid0(VALU_DEP_1)
	s_and_saveexec_b32 s4, s1
	s_cbranch_execz .LBB0_27
; %bb.26:
	ds_load_b32 v7, v0 offset:728
	ds_load_b32 v13, v0 offset:1872
	;; [unrolled: 1-line block ×7, first 2 shown]
.LBB0_27:
	s_wait_alu 0xfffe
	s_or_b32 exec_lo, exec_lo, s4
	v_dual_sub_f32 v51, v47, v48 :: v_dual_sub_f32 v56, v46, v31
	v_add_f32_e32 v60, v43, v29
	v_dual_sub_f32 v18, v18, v19 :: v_dual_add_f32 v83, v39, v36
	s_delay_alu instid0(VALU_DEP_3) | instskip(SKIP_3) | instid1(VALU_DEP_4)
	v_mul_f32_e32 v49, 0xbf52af12, v51
	v_mul_f32_e32 v50, 0xbeedf032, v51
	v_dual_mul_f32 v31, 0xbe750f2a, v51 :: v_dual_add_f32 v70, v42, v32
	v_mul_f32_e32 v48, 0xbf7e222b, v51
	v_fma_f32 v53, 0x3f116cb1, v60, -v49
	v_mul_f32_e32 v47, 0xbf6f5d39, v51
	v_fma_f32 v52, 0x3f62ad3f, v60, -v50
	v_dual_mul_f32 v79, 0x3e750f2a, v18 :: v_dual_add_f32 v84, v38, v37
	s_delay_alu instid0(VALU_DEP_4)
	v_add_f32_e32 v58, v6, v53
	v_fma_f32 v53, 0xbf788fa5, v60, -v31
	v_mul_f32_e32 v46, 0xbf29c268, v51
	v_fma_f32 v51, 0xbeb58ec6, v60, -v47
	v_fma_f32 v54, 0x3df6dbef, v60, -v48
	v_add_f32_e32 v57, v6, v52
	v_add_f32_e32 v63, v6, v53
	v_fma_f32 v52, 0xbf3f9e67, v60, -v46
	v_add_f32_e32 v61, v6, v51
	v_mul_f32_e32 v51, 0xbf52af12, v56
	v_dual_add_f32 v59, v6, v54 :: v_dual_mul_f32 v54, 0xbf6f5d39, v56
	v_mul_f32_e32 v53, 0x3f29c268, v56
	v_mul_f32_e32 v55, 0x3f7e222b, v56
	s_delay_alu instid0(VALU_DEP_4)
	v_fma_f32 v64, 0x3f116cb1, v70, -v51
	global_wb scope:SCOPE_SE
	s_wait_dscnt 0x0
	v_fma_f32 v65, 0xbeb58ec6, v70, -v54
	v_add_f32_e32 v62, v6, v52
	v_fma_f32 v67, 0x3df6dbef, v70, -v55
	v_add_f32_e32 v64, v64, v57
	v_fma_f32 v57, 0xbf3f9e67, v70, -v53
	v_dual_add_f32 v65, v65, v58 :: v_dual_mul_f32 v52, 0xbe750f2a, v56
	s_delay_alu instid0(VALU_DEP_4) | instskip(NEXT) | instid1(VALU_DEP_3)
	v_dual_sub_f32 v28, v45, v28 :: v_dual_add_f32 v67, v67, v62
	v_add_f32_e32 v61, v57, v61
	v_add_f32_e32 v81, v41, v35
	s_delay_alu instid0(VALU_DEP_4) | instskip(NEXT) | instid1(VALU_DEP_4)
	v_fma_f32 v66, 0xbf788fa5, v70, -v52
	v_dual_mul_f32 v57, 0xbf7e222b, v28 :: v_dual_add_f32 v82, v40, v33
	v_mul_f32_e32 v45, 0xbe750f2a, v28
	v_mul_f32_e32 v58, 0x3eedf032, v28
	s_delay_alu instid0(VALU_DEP_4)
	v_dual_add_f32 v66, v66, v59 :: v_dual_mul_f32 v59, 0x3eedf032, v56
	v_mul_f32_e32 v56, 0x3f6f5d39, v28
	v_fma_f32 v68, 0x3df6dbef, v81, -v57
	v_sub_f32_e32 v27, v30, v27
	s_barrier_signal -1
	s_barrier_wait -1
	v_fma_f32 v71, 0xbeb58ec6, v81, -v56
	v_add_f32_e32 v68, v68, v64
	v_mul_f32_e32 v64, 0xbf52af12, v28
	global_inv scope:SCOPE_SE
	v_mul_f32_e32 v30, 0xbf6f5d39, v27
	v_add_f32_e32 v66, v71, v66
	v_fma_f32 v62, 0x3f62ad3f, v70, -v59
	v_sub_f32_e32 v14, v14, v15
	s_delay_alu instid0(VALU_DEP_4) | instskip(NEXT) | instid1(VALU_DEP_3)
	v_fma_f32 v73, 0xbeb58ec6, v82, -v30
	v_dual_add_f32 v72, v62, v63 :: v_dual_mul_f32 v63, 0xbf29c268, v28
	v_fma_f32 v28, 0x3f116cb1, v81, -v64
	s_delay_alu instid0(VALU_DEP_1) | instskip(SKIP_2) | instid1(VALU_DEP_2)
	v_dual_add_f32 v73, v73, v68 :: v_dual_add_f32 v28, v28, v67
	v_fma_f32 v69, 0xbf788fa5, v81, -v45
	v_mul_f32_e32 v67, 0x3f7e222b, v18
	v_dual_mul_f32 v68, 0x3e750f2a, v27 :: v_dual_add_f32 v65, v69, v65
	v_fma_f32 v62, 0x3f62ad3f, v81, -v58
	s_delay_alu instid0(VALU_DEP_3) | instskip(NEXT) | instid1(VALU_DEP_2)
	v_fma_f32 v78, 0x3df6dbef, v83, -v67
	v_add_f32_e32 v71, v62, v61
	v_mul_f32_e32 v61, 0x3f29c268, v27
	v_mul_f32_e32 v62, 0x3eedf032, v27
	s_delay_alu instid0(VALU_DEP_2) | instskip(NEXT) | instid1(VALU_DEP_2)
	v_fma_f32 v74, 0xbf3f9e67, v82, -v61
	v_fma_f32 v75, 0x3f62ad3f, v82, -v62
	s_delay_alu instid0(VALU_DEP_2) | instskip(SKIP_1) | instid1(VALU_DEP_3)
	v_add_f32_e32 v74, v74, v65
	v_fma_f32 v69, 0xbf3f9e67, v81, -v63
	v_add_f32_e32 v76, v75, v66
	s_delay_alu instid0(VALU_DEP_3) | instskip(NEXT) | instid1(VALU_DEP_3)
	v_dual_mul_f32 v66, 0x3f52af12, v27 :: v_dual_add_f32 v85, v78, v74
	v_dual_add_f32 v72, v69, v72 :: v_dual_mul_f32 v69, 0xbf7e222b, v27
	v_fma_f32 v27, 0xbf788fa5, v82, -v68
	s_delay_alu instid0(VALU_DEP_3) | instskip(SKIP_1) | instid1(VALU_DEP_4)
	v_fma_f32 v75, 0x3f116cb1, v82, -v66
	v_mul_f32_e32 v65, 0xbf29c268, v18
	v_fma_f32 v19, 0x3df6dbef, v82, -v69
	s_delay_alu instid0(VALU_DEP_4) | instskip(NEXT) | instid1(VALU_DEP_4)
	v_add_f32_e32 v27, v27, v28
	v_add_f32_e32 v28, v75, v72
	s_delay_alu instid0(VALU_DEP_4) | instskip(NEXT) | instid1(VALU_DEP_4)
	v_fma_f32 v77, 0xbf3f9e67, v83, -v65
	v_add_f32_e32 v19, v19, v71
	v_mul_f32_e32 v71, 0xbf52af12, v18
	v_mul_f32_e32 v74, 0xbf6f5d39, v18
	s_delay_alu instid0(VALU_DEP_4) | instskip(NEXT) | instid1(VALU_DEP_3)
	v_add_f32_e32 v72, v77, v73
	v_fma_f32 v15, 0x3f116cb1, v83, -v71
	v_mul_f32_e32 v77, 0x3eedf032, v18
	v_fma_f32 v18, 0xbf788fa5, v83, -v79
	s_delay_alu instid0(VALU_DEP_3) | instskip(NEXT) | instid1(VALU_DEP_3)
	v_add_f32_e32 v86, v15, v76
	v_fma_f32 v73, 0x3f62ad3f, v83, -v77
	v_mul_f32_e32 v75, 0xbe750f2a, v14
	s_delay_alu instid0(VALU_DEP_4)
	v_add_f32_e32 v87, v18, v19
	v_fma_f32 v78, 0xbeb58ec6, v83, -v74
	v_mul_f32_e32 v76, 0xbf6f5d39, v14
	v_add_f32_e32 v88, v73, v27
	v_fma_f32 v80, 0xbf788fa5, v84, -v75
	v_mul_f32_e32 v73, 0x3f52af12, v14
	v_dual_add_f32 v89, v78, v28 :: v_dual_mul_f32 v78, 0x3f7e222b, v14
	s_delay_alu instid0(VALU_DEP_3) | instskip(SKIP_1) | instid1(VALU_DEP_3)
	v_dual_add_f32 v15, v80, v72 :: v_dual_mul_f32 v72, 0xbf29c268, v14
	v_mul_f32_e32 v80, 0x3eedf032, v14
	v_fma_f32 v90, 0x3df6dbef, v84, -v78
	s_delay_alu instid0(VALU_DEP_3) | instskip(NEXT) | instid1(VALU_DEP_3)
	v_fma_f32 v19, 0xbf3f9e67, v84, -v72
	v_fma_f32 v14, 0x3f62ad3f, v84, -v80
	s_delay_alu instid0(VALU_DEP_1) | instskip(SKIP_1) | instid1(VALU_DEP_1)
	v_add_f32_e32 v18, v14, v85
	v_fma_f32 v27, 0x3f116cb1, v84, -v73
	v_dual_add_f32 v14, v90, v89 :: v_dual_add_f32 v27, v27, v87
	v_fma_f32 v28, 0xbeb58ec6, v84, -v76
	s_delay_alu instid0(VALU_DEP_1)
	v_dual_add_f32 v19, v19, v86 :: v_dual_add_f32 v28, v28, v88
	s_and_saveexec_b32 s4, s0
	s_cbranch_execz .LBB0_29
; %bb.28:
	v_dual_add_f32 v43, v6, v43 :: v_dual_mul_f32 v86, 0x3f116cb1, v60
	v_mul_f32_e32 v85, 0x3f62ad3f, v60
	v_dual_mul_f32 v87, 0x3df6dbef, v60 :: v_dual_mul_f32 v92, 0x3df6dbef, v70
	s_delay_alu instid0(VALU_DEP_3)
	v_add_f32_e32 v42, v43, v42
	v_mul_f32_e32 v88, 0xbeb58ec6, v60
	v_mul_f32_e32 v91, 0xbf3f9e67, v70
	;; [unrolled: 1-line block ×4, first 2 shown]
	v_add_f32_e32 v41, v42, v41
	v_mul_f32_e32 v89, 0x3f116cb1, v70
	v_dual_mul_f32 v99, 0xbf788fa5, v82 :: v_dual_mul_f32 v102, 0xbf788fa5, v83
	v_mul_f32_e32 v100, 0x3df6dbef, v83
	s_delay_alu instid0(VALU_DEP_4) | instskip(SKIP_3) | instid1(VALU_DEP_4)
	v_add_f32_e32 v40, v41, v40
	v_mul_f32_e32 v90, 0xbeb58ec6, v70
	v_dual_mul_f32 v41, 0x3df6dbef, v81 :: v_dual_mul_f32 v98, 0x3df6dbef, v82
	v_dual_mul_f32 v103, 0xbf788fa5, v84 :: v_dual_add_f32 v48, v48, v87
	v_add_f32_e32 v39, v40, v39
	v_mul_f32_e32 v43, 0xbf3f9e67, v60
	v_dual_mul_f32 v60, 0xbf788fa5, v60 :: v_dual_mul_f32 v93, 0xbf788fa5, v81
	s_delay_alu instid0(VALU_DEP_3) | instskip(SKIP_3) | instid1(VALU_DEP_4)
	v_dual_mul_f32 v95, 0x3f62ad3f, v81 :: v_dual_add_f32 v38, v39, v38
	v_mul_f32_e32 v42, 0xbf788fa5, v70
	v_mul_f32_e32 v70, 0x3f62ad3f, v70
	v_dual_mul_f32 v40, 0x3f116cb1, v81 :: v_dual_mul_f32 v101, 0x3f116cb1, v83
	v_add_f32_e32 v37, v38, v37
	v_mul_f32_e32 v81, 0xbf3f9e67, v81
	v_dual_mul_f32 v39, 0x3f62ad3f, v82 :: v_dual_mul_f32 v104, 0x3f62ad3f, v84
	v_mul_f32_e32 v105, 0x3f116cb1, v84
	s_delay_alu instid0(VALU_DEP_4) | instskip(SKIP_3) | instid1(VALU_DEP_4)
	v_add_f32_e32 v36, v37, v36
	v_mul_f32_e32 v96, 0xbeb58ec6, v82
	v_mul_f32_e32 v82, 0x3f116cb1, v82
	v_dual_mul_f32 v38, 0xbf3f9e67, v83 :: v_dual_add_f32 v49, v49, v86
	v_dual_add_f32 v33, v36, v33 :: v_dual_mul_f32 v106, 0xbeb58ec6, v84
	v_mul_f32_e32 v36, 0xbf3f9e67, v84
	v_mul_f32_e32 v84, 0x3df6dbef, v84
	v_add_f32_e32 v47, v47, v88
	s_delay_alu instid0(VALU_DEP_4) | instskip(SKIP_3) | instid1(VALU_DEP_4)
	v_add_f32_e32 v33, v33, v35
	v_mul_f32_e32 v37, 0x3f62ad3f, v83
	v_add_f32_e32 v35, v50, v85
	v_mul_f32_e32 v83, 0xbeb58ec6, v83
	v_dual_add_f32 v39, v62, v39 :: v_dual_add_f32 v32, v33, v32
	v_add_f32_e32 v33, v46, v43
	s_delay_alu instid0(VALU_DEP_4) | instskip(SKIP_1) | instid1(VALU_DEP_4)
	v_add_f32_e32 v35, v6, v35
	v_add_f32_e32 v43, v6, v49
	v_dual_add_f32 v46, v6, v48 :: v_dual_add_f32 v29, v32, v29
	v_add_f32_e32 v31, v31, v60
	v_add_f32_e32 v32, v51, v89
	v_add_f32_e32 v48, v54, v90
	v_add_f32_e32 v47, v6, v47
	v_add_f32_e32 v33, v6, v33
	v_add_f32_e32 v6, v6, v31
	v_add_f32_e32 v31, v32, v35
	v_add_f32_e32 v32, v52, v42
	v_add_f32_e32 v42, v53, v91
	v_dual_add_f32 v35, v48, v43 :: v_dual_add_f32 v30, v30, v96
	v_add_f32_e32 v43, v55, v92
	v_dual_add_f32 v48, v59, v70 :: v_dual_add_f32 v41, v57, v41
	s_delay_alu instid0(VALU_DEP_4) | instskip(SKIP_2) | instid1(VALU_DEP_4)
	v_add_f32_e32 v42, v42, v47
	v_add_f32_e32 v40, v64, v40
	;; [unrolled: 1-line block ×3, first 2 shown]
	v_dual_add_f32 v6, v48, v6 :: v_dual_add_f32 v33, v43, v33
	v_add_f32_e32 v31, v41, v31
	v_add_f32_e32 v43, v45, v93
	;; [unrolled: 1-line block ×7, first 2 shown]
	v_dual_add_f32 v35, v43, v35 :: v_dual_add_f32 v32, v41, v32
	v_add_f32_e32 v31, v68, v99
	v_mul_u32_u24_e32 v26, 26, v26
	s_delay_alu instid0(VALU_DEP_3) | instskip(SKIP_1) | instid1(VALU_DEP_4)
	v_dual_add_f32 v35, v40, v35 :: v_dual_add_f32 v40, v66, v82
	v_add_f32_e32 v43, v63, v81
	v_add_f32_e32 v31, v31, v33
	v_dual_add_f32 v33, v65, v38 :: v_dual_add_f32 v38, v67, v100
	v_or_b32_e32 v20, v26, v20
	s_delay_alu instid0(VALU_DEP_4) | instskip(SKIP_1) | instid1(VALU_DEP_4)
	v_add_f32_e32 v6, v43, v6
	v_add_f32_e32 v26, v73, v105
	;; [unrolled: 1-line block ×3, first 2 shown]
	s_delay_alu instid0(VALU_DEP_4) | instskip(NEXT) | instid1(VALU_DEP_4)
	v_lshl_add_u32 v20, v20, 2, 0
	v_add_f32_e32 v6, v40, v6
	v_add_f32_e32 v40, v79, v102
	v_dual_add_f32 v41, v45, v42 :: v_dual_add_f32 v32, v39, v32
	v_add_f32_e32 v42, v69, v98
	s_delay_alu instid0(VALU_DEP_1) | instskip(SKIP_1) | instid1(VALU_DEP_1)
	v_add_f32_e32 v39, v42, v41
	v_add_f32_e32 v41, v71, v101
	v_dual_add_f32 v32, v41, v32 :: v_dual_add_f32 v33, v38, v35
	v_dual_add_f32 v35, v77, v37 :: v_dual_add_f32 v38, v74, v83
	s_delay_alu instid0(VALU_DEP_4) | instskip(SKIP_1) | instid1(VALU_DEP_3)
	v_add_f32_e32 v37, v40, v39
	v_dual_add_f32 v39, v75, v103 :: v_dual_add_f32 v40, v80, v104
	v_add_f32_e32 v6, v38, v6
	s_delay_alu instid0(VALU_DEP_3) | instskip(SKIP_4) | instid1(VALU_DEP_4)
	v_add_f32_e32 v26, v26, v37
	v_dual_add_f32 v38, v78, v84 :: v_dual_add_f32 v31, v35, v31
	v_add_f32_e32 v35, v72, v36
	v_add_f32_e32 v36, v76, v106
	;; [unrolled: 1-line block ×3, first 2 shown]
	v_dual_add_f32 v6, v38, v6 :: v_dual_add_f32 v33, v40, v33
	s_delay_alu instid0(VALU_DEP_3)
	v_dual_add_f32 v32, v35, v32 :: v_dual_add_f32 v31, v36, v31
	ds_store_2addr_b32 v20, v29, v30 offset1:2
	ds_store_2addr_b32 v20, v33, v32 offset0:4 offset1:6
	ds_store_2addr_b32 v20, v26, v31 offset0:8 offset1:10
	;; [unrolled: 1-line block ×5, first 2 shown]
	ds_store_b32 v20, v15 offset:96
.LBB0_29:
	s_wait_alu 0xfffe
	s_or_b32 exec_lo, exec_lo, s4
	global_wb scope:SCOPE_SE
	s_wait_dscnt 0x0
	s_barrier_signal -1
	s_barrier_wait -1
	global_inv scope:SCOPE_SE
	ds_load_b32 v6, v0
	ds_load_b32 v42, v0 offset:1144
	ds_load_b32 v41, v0 offset:2288
	;; [unrolled: 1-line block ×6, first 2 shown]
                                        ; implicit-def: $vgpr29
	s_and_saveexec_b32 s0, s1
	s_cbranch_execz .LBB0_31
; %bb.30:
	ds_load_b32 v14, v0 offset:728
	ds_load_b32 v28, v0 offset:1872
	;; [unrolled: 1-line block ×7, first 2 shown]
.LBB0_31:
	s_wait_alu 0xfffe
	s_or_b32 exec_lo, exec_lo, s0
	v_and_b32_e32 v20, 0xff, v44
	s_delay_alu instid0(VALU_DEP_1) | instskip(NEXT) | instid1(VALU_DEP_1)
	v_mul_lo_u16 v20, 0x4f, v20
	v_lshrrev_b16 v20, 11, v20
	s_delay_alu instid0(VALU_DEP_1) | instskip(NEXT) | instid1(VALU_DEP_1)
	v_mul_lo_u16 v30, v20, 26
	v_sub_nc_u16 v30, v44, v30
	s_delay_alu instid0(VALU_DEP_1) | instskip(NEXT) | instid1(VALU_DEP_1)
	v_and_b32_e32 v30, 0xff, v30
	v_mul_u32_u24_e32 v32, 6, v30
	s_delay_alu instid0(VALU_DEP_1)
	v_lshlrev_b32_e32 v32, 3, v32
	s_clause 0x1
	global_load_b128 v[51:54], v32, s[8:9] offset:192
	global_load_b128 v[55:58], v32, s[8:9] offset:208
	s_wait_loadcnt 0x1
	v_dual_mul_f32 v45, v25, v52 :: v_dual_and_b32 v26, 0xffff, v34
	s_delay_alu instid0(VALU_DEP_1)
	v_mul_u32_u24_e32 v26, 0x4ec5, v26
	s_wait_loadcnt 0x0
	v_dual_mul_f32 v46, v24, v54 :: v_dual_mul_f32 v43, v23, v56
	v_mul_f32_e32 v47, v22, v58
	s_wait_dscnt 0x5
	v_fmac_f32_e32 v45, v42, v51
	v_lshrrev_b32_e32 v26, 19, v26
	s_wait_dscnt 0x4
	v_fmac_f32_e32 v46, v41, v53
	v_mul_f32_e32 v50, v42, v52
	v_mul_f32_e32 v52, v41, v54
	s_wait_dscnt 0x2
	v_dual_mul_f32 v54, v40, v56 :: v_dual_fmac_f32 v47, v39, v57
	v_mul_lo_u16 v31, v26, 26
	v_dual_mul_f32 v56, v39, v58 :: v_dual_fmac_f32 v43, v40, v55
	v_fma_f32 v50, v25, v51, -v50
	v_mul_lo_u16 v26, 0xb6, v26
	s_delay_alu instid0(VALU_DEP_4) | instskip(SKIP_3) | instid1(VALU_DEP_4)
	v_sub_nc_u16 v31, v34, v31
	v_fma_f32 v25, v24, v53, -v52
	v_fma_f32 v40, v22, v57, -v56
	;; [unrolled: 1-line block ×3, first 2 shown]
	v_and_b32_e32 v31, 0xffff, v31
	s_delay_alu instid0(VALU_DEP_1) | instskip(NEXT) | instid1(VALU_DEP_1)
	v_mul_u32_u24_e32 v33, 6, v31
	v_lshlrev_b32_e32 v33, 3, v33
	s_clause 0x3
	global_load_b128 v[59:62], v32, s[8:9] offset:224
	global_load_b128 v[63:66], v33, s[8:9] offset:192
	;; [unrolled: 1-line block ×4, first 2 shown]
	v_and_b32_e32 v20, 0xffff, v20
	v_lshlrev_b32_e32 v30, 2, v30
	global_wb scope:SCOPE_SE
	s_wait_loadcnt_dscnt 0x0
	s_barrier_signal -1
	s_barrier_wait -1
	global_inv scope:SCOPE_SE
	v_dual_mul_f32 v49, v17, v62 :: v_dual_mul_f32 v58, v38, v60
	v_mul_f32_e32 v33, v12, v66
	v_mul_u32_u24_e32 v32, 0x2d8, v20
	v_dual_mul_f32 v35, v9, v72 :: v_dual_lshlrev_b32 v20, 2, v31
	s_delay_alu instid0(VALU_DEP_3) | instskip(SKIP_1) | instid1(VALU_DEP_4)
	v_dual_mul_f32 v48, v21, v60 :: v_dual_fmac_f32 v33, v27, v65
	v_dual_mul_f32 v31, v11, v68 :: v_dual_mul_f32 v60, v37, v62
	v_add3_u32 v30, 0, v32, v30
	v_mul_f32_e32 v32, v13, v64
	v_mul_f32_e32 v34, v10, v70
	v_dual_fmac_f32 v48, v38, v59 :: v_dual_fmac_f32 v49, v37, v61
	v_fmac_f32_e32 v31, v19, v67
	v_fma_f32 v17, v17, v61, -v60
	v_mul_f32_e32 v62, v28, v64
	v_mul_f32_e32 v64, v27, v66
	;; [unrolled: 1-line block ×6, first 2 shown]
	v_fmac_f32_e32 v34, v18, v69
	v_sub_f32_e32 v18, v47, v43
	v_fma_f32 v39, v21, v59, -v58
	v_fma_f32 v24, v9, v71, -v70
	v_add_f32_e32 v9, v50, v17
	v_fma_f32 v22, v13, v63, -v62
	v_sub_f32_e32 v13, v46, v48
	v_fma_f32 v19, v10, v69, -v68
	v_add_f32_e32 v10, v25, v39
	v_fmac_f32_e32 v35, v15, v71
	v_fma_f32 v15, v16, v73, -v72
	v_add_f32_e32 v37, v18, v13
	v_fma_f32 v23, v11, v67, -v66
	v_sub_f32_e32 v11, v45, v49
	v_sub_f32_e32 v38, v18, v13
	v_fma_f32 v21, v12, v65, -v64
	v_dual_add_f32 v12, v41, v40 :: v_dual_add_f32 v27, v10, v9
	s_delay_alu instid0(VALU_DEP_4) | instskip(SKIP_2) | instid1(VALU_DEP_3)
	v_dual_sub_f32 v18, v11, v18 :: v_dual_sub_f32 v13, v13, v11
	v_add_f32_e32 v11, v37, v11
	v_dual_mul_f32 v37, 0xbf08b237, v38 :: v_dual_fmac_f32 v32, v28, v63
	v_mul_f32_e32 v38, 0x3f5ff5aa, v13
	s_delay_alu instid0(VALU_DEP_2) | instskip(SKIP_1) | instid1(VALU_DEP_3)
	v_fma_f32 v13, 0x3f5ff5aa, v13, -v37
	v_fmamk_f32 v42, v18, 0x3eae86e6, v37
	v_fma_f32 v18, 0xbeae86e6, v18, -v38
	s_delay_alu instid0(VALU_DEP_3) | instskip(SKIP_4) | instid1(VALU_DEP_4)
	v_dual_fmac_f32 v13, 0x3ee1c552, v11 :: v_dual_sub_f32 v28, v10, v9
	v_dual_sub_f32 v9, v9, v12 :: v_dual_sub_f32 v10, v12, v10
	v_add_f32_e32 v12, v12, v27
	v_mul_f32_e32 v36, v16, v74
	v_fmac_f32_e32 v42, 0x3ee1c552, v11
	v_mul_f32_e32 v9, 0x3f4a47b2, v9
	s_delay_alu instid0(VALU_DEP_4) | instskip(SKIP_2) | instid1(VALU_DEP_3)
	v_dual_mul_f32 v27, 0x3d64c772, v10 :: v_dual_add_f32 v8, v8, v12
	v_fmac_f32_e32 v18, 0x3ee1c552, v11
	v_fmac_f32_e32 v36, v29, v73
	v_fma_f32 v27, 0x3f3bfb3b, v28, -v27
	s_delay_alu instid0(VALU_DEP_4) | instskip(NEXT) | instid1(VALU_DEP_1)
	v_fmamk_f32 v12, v12, 0xbf955555, v8
	v_add_f32_e32 v11, v27, v12
	s_delay_alu instid0(VALU_DEP_1) | instskip(SKIP_2) | instid1(VALU_DEP_3)
	v_dual_sub_f32 v27, v11, v13 :: v_dual_fmamk_f32 v10, v10, 0x3d64c772, v9
	v_add_f32_e32 v11, v13, v11
	v_fma_f32 v9, 0xbf3bfb3b, v28, -v9
	v_add_f32_e32 v10, v10, v12
	s_delay_alu instid0(VALU_DEP_1) | instskip(SKIP_1) | instid1(VALU_DEP_2)
	v_dual_add_f32 v9, v9, v12 :: v_dual_add_f32 v12, v42, v10
	v_sub_f32_e32 v10, v10, v42
	v_dual_add_f32 v16, v18, v9 :: v_dual_sub_f32 v9, v9, v18
	ds_store_2addr_b32 v30, v8, v12 offset1:26
	ds_store_2addr_b32 v30, v16, v27 offset0:52 offset1:78
	ds_store_2addr_b32 v30, v11, v9 offset0:104 offset1:130
	ds_store_b32 v30, v10 offset:624
	s_and_saveexec_b32 s0, s1
	s_cbranch_execz .LBB0_33
; %bb.32:
	v_dual_add_f32 v8, v22, v15 :: v_dual_add_f32 v9, v21, v24
	v_dual_add_f32 v10, v23, v19 :: v_dual_sub_f32 v11, v32, v36
	v_sub_f32_e32 v12, v34, v31
	v_sub_f32_e32 v16, v33, v35
	s_delay_alu instid0(VALU_DEP_4) | instskip(NEXT) | instid1(VALU_DEP_4)
	v_add_f32_e32 v13, v9, v8
	v_dual_sub_f32 v27, v10, v9 :: v_dual_sub_f32 v18, v8, v10
	v_sub_f32_e32 v8, v9, v8
	s_delay_alu instid0(VALU_DEP_3) | instskip(NEXT) | instid1(VALU_DEP_1)
	v_dual_add_f32 v10, v10, v13 :: v_dual_sub_f32 v13, v12, v16
	v_add_f32_e32 v7, v7, v10
	s_delay_alu instid0(VALU_DEP_2) | instskip(SKIP_1) | instid1(VALU_DEP_3)
	v_dual_mul_f32 v13, 0xbf08b237, v13 :: v_dual_sub_f32 v28, v11, v12
	v_dual_mul_f32 v9, 0x3f4a47b2, v18 :: v_dual_add_f32 v12, v12, v16
	v_fmamk_f32 v10, v10, 0xbf955555, v7
	s_delay_alu instid0(VALU_DEP_2) | instskip(SKIP_3) | instid1(VALU_DEP_4)
	v_dual_mul_f32 v18, 0x3d64c772, v27 :: v_dual_fmamk_f32 v27, v27, 0x3d64c772, v9
	v_sub_f32_e32 v16, v16, v11
	v_fma_f32 v9, 0xbf3bfb3b, v8, -v9
	v_add_f32_e32 v11, v12, v11
	v_add_f32_e32 v27, v27, v10
	s_delay_alu instid0(VALU_DEP_3) | instskip(SKIP_4) | instid1(VALU_DEP_4)
	v_add_f32_e32 v9, v9, v10
	v_fma_f32 v8, 0x3f3bfb3b, v8, -v18
	v_mul_f32_e32 v29, 0x3f5ff5aa, v16
	v_fmamk_f32 v12, v28, 0x3eae86e6, v13
	v_fma_f32 v13, 0x3f5ff5aa, v16, -v13
	v_add_f32_e32 v8, v8, v10
	s_delay_alu instid0(VALU_DEP_4) | instskip(NEXT) | instid1(VALU_DEP_4)
	v_fma_f32 v28, 0xbeae86e6, v28, -v29
	v_fmac_f32_e32 v12, 0x3ee1c552, v11
	s_delay_alu instid0(VALU_DEP_2) | instskip(SKIP_2) | instid1(VALU_DEP_4)
	v_fmac_f32_e32 v28, 0x3ee1c552, v11
	v_and_b32_e32 v16, 0xffff, v26
	v_fmac_f32_e32 v13, 0x3ee1c552, v11
	v_add_f32_e32 v18, v12, v27
	v_sub_f32_e32 v12, v27, v12
	v_sub_f32_e32 v11, v9, v28
	v_dual_add_f32 v9, v28, v9 :: v_dual_lshlrev_b32 v10, 2, v16
	v_sub_f32_e32 v16, v8, v13
	v_add_f32_e32 v8, v13, v8
	s_delay_alu instid0(VALU_DEP_3)
	v_add3_u32 v10, 0, v20, v10
	ds_store_2addr_b32 v10, v7, v18 offset1:26
	ds_store_2addr_b32 v10, v9, v16 offset0:52 offset1:78
	ds_store_2addr_b32 v10, v8, v11 offset0:104 offset1:130
	ds_store_b32 v10, v12 offset:624
.LBB0_33:
	s_wait_alu 0xfffe
	s_or_b32 exec_lo, exec_lo, s0
	v_dual_add_f32 v7, v45, v49 :: v_dual_add_f32 v8, v46, v48
	v_dual_sub_f32 v9, v50, v17 :: v_dual_add_f32 v10, v43, v47
	v_dual_sub_f32 v11, v25, v39 :: v_dual_sub_f32 v12, v40, v41
	s_delay_alu instid0(VALU_DEP_3) | instskip(NEXT) | instid1(VALU_DEP_3)
	v_add_f32_e32 v13, v8, v7
	v_dual_sub_f32 v16, v8, v7 :: v_dual_sub_f32 v7, v7, v10
	s_delay_alu instid0(VALU_DEP_3) | instskip(NEXT) | instid1(VALU_DEP_3)
	v_dual_sub_f32 v8, v10, v8 :: v_dual_add_f32 v17, v12, v11
	v_dual_add_f32 v10, v10, v13 :: v_dual_sub_f32 v13, v12, v11
	v_dual_sub_f32 v12, v9, v12 :: v_dual_sub_f32 v11, v11, v9
	global_wb scope:SCOPE_SE
	s_wait_dscnt 0x0
	v_dual_add_f32 v27, v6, v10 :: v_dual_mul_f32 v6, 0x3f4a47b2, v7
	v_mul_f32_e32 v7, 0x3d64c772, v8
	s_barrier_signal -1
	s_barrier_wait -1
	global_inv scope:SCOPE_SE
	v_dual_fmamk_f32 v8, v8, 0x3d64c772, v6 :: v_dual_add_f32 v25, v17, v9
	v_fmamk_f32 v10, v10, 0xbf955555, v27
	v_fma_f32 v6, 0xbf3bfb3b, v16, -v6
	s_delay_alu instid0(VALU_DEP_2) | instskip(NEXT) | instid1(VALU_DEP_2)
	v_dual_mul_f32 v9, 0xbf08b237, v13 :: v_dual_add_f32 v38, v8, v10
	v_add_f32_e32 v40, v6, v10
	v_fma_f32 v7, 0x3f3bfb3b, v16, -v7
	s_delay_alu instid0(VALU_DEP_3) | instskip(SKIP_1) | instid1(VALU_DEP_3)
	v_fmamk_f32 v28, v12, 0x3eae86e6, v9
	v_fma_f32 v29, 0x3f5ff5aa, v11, -v9
	v_dual_add_f32 v39, v7, v10 :: v_dual_add_nc_u32 v16, 0x1600, v0
	s_delay_alu instid0(VALU_DEP_3) | instskip(SKIP_1) | instid1(VALU_DEP_4)
	v_fmac_f32_e32 v28, 0x3ee1c552, v25
	v_mul_f32_e32 v13, 0x3f5ff5aa, v11
	v_fmac_f32_e32 v29, 0x3ee1c552, v25
	v_add_nc_u32_e32 v9, 0xb00, v0
	v_add_nc_u32_e32 v10, 0x1000, v0
	s_delay_alu instid0(VALU_DEP_4) | instskip(NEXT) | instid1(VALU_DEP_4)
	v_fma_f32 v37, 0xbeae86e6, v12, -v13
	v_dual_add_f32 v42, v29, v39 :: v_dual_sub_f32 v29, v39, v29
	s_delay_alu instid0(VALU_DEP_2) | instskip(NEXT) | instid1(VALU_DEP_1)
	v_fmac_f32_e32 v37, 0x3ee1c552, v25
	v_dual_sub_f32 v41, v40, v37 :: v_dual_add_nc_u32 v8, 0x500, v0
	ds_load_2addr_b32 v[6:7], v0 offset1:182
	ds_load_2addr_b32 v[12:13], v8 offset0:44 offset1:226
	ds_load_2addr_b32 v[8:9], v9 offset0:24 offset1:206
	;; [unrolled: 1-line block ×4, first 2 shown]
	ds_load_b32 v18, v0 offset:7280
	v_add_f32_e32 v37, v37, v40
	v_dual_sub_f32 v25, v38, v28 :: v_dual_add_f32 v28, v28, v38
	global_wb scope:SCOPE_SE
	s_wait_dscnt 0x0
	s_barrier_signal -1
	s_barrier_wait -1
	global_inv scope:SCOPE_SE
	ds_store_2addr_b32 v30, v27, v25 offset1:26
	ds_store_2addr_b32 v30, v41, v42 offset0:52 offset1:78
	ds_store_2addr_b32 v30, v29, v37 offset0:104 offset1:130
	ds_store_b32 v30, v28 offset:624
	s_and_saveexec_b32 s0, s1
	s_cbranch_execz .LBB0_35
; %bb.34:
	v_add_f32_e32 v25, v32, v36
	v_sub_f32_e32 v21, v21, v24
	v_sub_f32_e32 v19, v19, v23
	v_dual_add_f32 v27, v33, v35 :: v_dual_and_b32 v26, 0xffff, v26
	s_delay_alu instid0(VALU_DEP_2) | instskip(SKIP_1) | instid1(VALU_DEP_3)
	v_dual_add_f32 v28, v19, v21 :: v_dual_sub_f32 v15, v22, v15
	v_add_f32_e32 v22, v31, v34
	v_sub_f32_e32 v24, v27, v25
	v_add_f32_e32 v23, v27, v25
	s_delay_alu instid0(VALU_DEP_3) | instskip(SKIP_1) | instid1(VALU_DEP_3)
	v_sub_f32_e32 v25, v25, v22
	v_sub_f32_e32 v27, v22, v27
	v_add_f32_e32 v22, v22, v23
	s_delay_alu instid0(VALU_DEP_1) | instskip(NEXT) | instid1(VALU_DEP_1)
	v_add_f32_e32 v14, v14, v22
	v_dual_fmamk_f32 v22, v22, 0xbf955555, v14 :: v_dual_sub_f32 v23, v19, v21
	v_sub_f32_e32 v19, v15, v19
	v_sub_f32_e32 v21, v21, v15
	v_add_f32_e32 v15, v28, v15
	v_mul_f32_e32 v25, 0x3f4a47b2, v25
	v_mul_f32_e32 v28, 0x3d64c772, v27
	;; [unrolled: 1-line block ×4, first 2 shown]
	s_delay_alu instid0(VALU_DEP_4) | instskip(NEXT) | instid1(VALU_DEP_4)
	v_fmamk_f32 v27, v27, 0x3d64c772, v25
	v_fma_f32 v28, 0x3f3bfb3b, v24, -v28
	s_delay_alu instid0(VALU_DEP_4) | instskip(SKIP_4) | instid1(VALU_DEP_4)
	v_fma_f32 v21, 0x3f5ff5aa, v21, -v23
	v_fma_f32 v24, 0xbf3bfb3b, v24, -v25
	v_fmamk_f32 v25, v19, 0x3eae86e6, v23
	v_add_f32_e32 v23, v27, v22
	v_add_f32_e32 v27, v28, v22
	v_dual_fmac_f32 v21, 0x3ee1c552, v15 :: v_dual_add_f32 v22, v24, v22
	s_delay_alu instid0(VALU_DEP_4) | instskip(NEXT) | instid1(VALU_DEP_2)
	v_fmac_f32_e32 v25, 0x3ee1c552, v15
	v_add_f32_e32 v28, v21, v27
	v_fma_f32 v19, 0xbeae86e6, v19, -v29
	s_delay_alu instid0(VALU_DEP_1) | instskip(NEXT) | instid1(VALU_DEP_1)
	v_dual_sub_f32 v24, v23, v25 :: v_dual_fmac_f32 v19, 0x3ee1c552, v15
	v_dual_sub_f32 v26, v22, v19 :: v_dual_lshlrev_b32 v15, 2, v26
	s_delay_alu instid0(VALU_DEP_1)
	v_add3_u32 v15, 0, v20, v15
	v_sub_f32_e32 v20, v27, v21
	v_add_f32_e32 v19, v19, v22
	v_add_f32_e32 v21, v25, v23
	ds_store_2addr_b32 v15, v14, v24 offset1:26
	ds_store_2addr_b32 v15, v26, v28 offset0:52 offset1:78
	ds_store_2addr_b32 v15, v20, v19 offset0:104 offset1:130
	ds_store_b32 v15, v21 offset:624
.LBB0_35:
	s_wait_alu 0xfffe
	s_or_b32 exec_lo, exec_lo, s0
	global_wb scope:SCOPE_SE
	s_wait_dscnt 0x0
	s_barrier_signal -1
	s_barrier_wait -1
	global_inv scope:SCOPE_SE
	s_and_saveexec_b32 s0, vcc_lo
	s_cbranch_execz .LBB0_37
; %bb.36:
	v_mul_u32_u24_e32 v14, 10, v44
	v_mul_lo_u32 v41, s3, v4
	v_mul_lo_u32 v5, s2, v5
	v_mad_co_u64_u32 v[39:40], null, s2, v4, 0
	s_delay_alu instid0(VALU_DEP_4)
	v_lshlrev_b32_e32 v14, 3, v14
	v_mov_b32_e32 v4, 0
	s_clause 0x4
	global_load_b128 v[19:22], v14, s[8:9] offset:1504
	global_load_b128 v[23:26], v14, s[8:9] offset:1440
	;; [unrolled: 1-line block ×5, first 2 shown]
	v_add3_u32 v40, v40, v5, v41
	v_add_nc_u32_e32 v42, 0x1600, v0
	v_add_nc_u32_e32 v5, 0x500, v0
	ds_load_b32 v47, v0 offset:7280
	ds_load_2addr_b32 v[14:15], v0 offset1:182
	v_add_nc_u32_e32 v45, 0xb00, v0
	v_lshlrev_b64_e32 v[39:40], 3, v[39:40]
	v_add_nc_u32_e32 v48, 0x1000, v0
	v_lshlrev_b64_e32 v[0:1], 3, v[1:2]
	ds_load_2addr_b32 v[41:42], v42 offset0:48 offset1:230
	ds_load_2addr_b32 v[43:44], v5 offset0:44 offset1:226
	;; [unrolled: 1-line block ×3, first 2 shown]
	v_lshlrev_b64_e32 v[2:3], 3, v[3:4]
	v_add_co_u32 v5, vcc_lo, s6, v39
	s_wait_alu 0xfffd
	v_add_co_ci_u32_e32 v39, vcc_lo, s7, v40, vcc_lo
	s_delay_alu instid0(VALU_DEP_2) | instskip(SKIP_1) | instid1(VALU_DEP_2)
	v_add_co_u32 v4, vcc_lo, v5, v0
	s_wait_alu 0xfffd
	v_add_co_ci_u32_e32 v5, vcc_lo, v39, v1, vcc_lo
	s_delay_alu instid0(VALU_DEP_2) | instskip(SKIP_1) | instid1(VALU_DEP_2)
	v_add_co_u32 v2, vcc_lo, v4, v2
	s_wait_alu 0xfffd
	v_add_co_ci_u32_e32 v3, vcc_lo, v5, v3, vcc_lo
	s_wait_loadcnt 0x4
	v_mul_f32_e32 v39, v18, v22
	s_wait_loadcnt_dscnt 0x303
	v_mul_f32_e32 v5, v15, v24
	v_mul_f32_e32 v22, v47, v22
	s_wait_loadcnt 0x1
	v_mul_f32_e32 v51, v8, v34
	ds_load_2addr_b32 v[0:1], v48 offset0:68 offset1:250
	v_dual_mul_f32 v40, v12, v26 :: v_dual_mul_f32 v49, v13, v32
	v_mul_f32_e32 v4, v7, v24
	v_dual_mul_f32 v24, v17, v20 :: v_dual_fmac_f32 v39, v47, v21
	s_wait_loadcnt_dscnt 0x2
	v_dual_mul_f32 v26, v43, v26 :: v_dual_mul_f32 v53, v9, v36
	s_wait_dscnt 0x1
	v_dual_mul_f32 v20, v42, v20 :: v_dual_fmac_f32 v51, v45, v33
	v_mul_f32_e32 v48, v16, v30
	v_mul_f32_e32 v34, v45, v34
	v_fma_f32 v5, v7, v23, -v5
	v_fma_f32 v22, v18, v21, -v22
	;; [unrolled: 1-line block ×4, first 2 shown]
	v_fmac_f32_e32 v49, v44, v31
	v_fmac_f32_e32 v4, v15, v23
	v_dual_fmac_f32 v40, v43, v25 :: v_dual_fmac_f32 v53, v46, v35
	v_fmac_f32_e32 v48, v41, v29
	v_mul_f32_e32 v50, v11, v28
	s_wait_dscnt 0x0
	v_dual_mul_f32 v28, v1, v28 :: v_dual_sub_f32 v15, v7, v18
	v_mul_f32_e32 v32, v44, v32
	s_delay_alu instid0(VALU_DEP_3) | instskip(SKIP_1) | instid1(VALU_DEP_4)
	v_dual_add_f32 v17, v48, v49 :: v_dual_fmac_f32 v50, v1, v27
	v_fma_f32 v1, v8, v33, -v34
	v_fma_f32 v8, v11, v27, -v28
	v_mul_f32_e32 v52, v10, v38
	v_mul_f32_e32 v38, v0, v38
	v_dual_sub_f32 v11, v5, v22 :: v_dual_add_f32 v26, v22, v5
	s_delay_alu instid0(VALU_DEP_4)
	v_sub_f32_e32 v21, v1, v8
	v_add_f32_e32 v5, v6, v5
	v_add_f32_e32 v20, v50, v51
	v_fmac_f32_e32 v52, v0, v37
	v_mul_f32_e32 v36, v46, v36
	v_fma_f32 v12, v13, v31, -v32
	v_dual_sub_f32 v31, v49, v48 :: v_dual_fmac_f32 v24, v42, v19
	v_sub_f32_e32 v33, v51, v50
	v_add_f32_e32 v23, v52, v53
	v_fma_f32 v0, v9, v35, -v36
	v_fma_f32 v9, v10, v37, -v38
	v_mul_f32_e32 v61, 0x3e903f40, v31
	s_delay_alu instid0(VALU_DEP_4) | instskip(SKIP_1) | instid1(VALU_DEP_4)
	v_dual_mul_f32 v75, 0x3f575c64, v17 :: v_dual_mul_f32 v58, 0x3f575c64, v23
	v_mul_f32_e32 v77, 0x3ed4b147, v23
	v_sub_f32_e32 v25, v0, v9
	v_dual_sub_f32 v27, v4, v39 :: v_dual_mul_f32 v30, v41, v30
	v_add_f32_e32 v13, v24, v40
	v_add_f32_e32 v10, v39, v4
	s_delay_alu instid0(VALU_DEP_3) | instskip(NEXT) | instid1(VALU_DEP_4)
	v_dual_add_f32 v34, v9, v0 :: v_dual_mul_f32 v59, 0xbf68dda4, v27
	v_fma_f32 v16, v16, v29, -v30
	v_dual_sub_f32 v29, v40, v24 :: v_dual_mul_f32 v42, 0xbf75a155, v23
	v_dual_mul_f32 v65, 0xbf75a155, v13 :: v_dual_add_f32 v28, v18, v7
	v_mul_f32_e32 v55, 0xbf27a4f4, v13
	v_mul_f32_e32 v37, 0x3ed4b147, v13
	;; [unrolled: 1-line block ×3, first 2 shown]
	v_dual_sub_f32 v35, v53, v52 :: v_dual_mul_f32 v36, 0x3f575c64, v10
	v_mul_f32_e32 v67, 0x3f575c64, v20
	v_dual_mul_f32 v38, 0xbe11bafb, v17 :: v_dual_mul_f32 v57, 0xbe11bafb, v20
	v_mul_f32_e32 v43, 0xbf0a6770, v27
	v_mul_f32_e32 v54, 0x3ed4b147, v10
	;; [unrolled: 1-line block ×3, first 2 shown]
	v_dual_mul_f32 v68, 0xbf27a4f4, v23 :: v_dual_mul_f32 v73, 0xbf27a4f4, v10
	v_mul_f32_e32 v60, 0xbf4178ce, v29
	v_dual_mul_f32 v70, 0x3e903f40, v29 :: v_dual_fmamk_f32 v85, v25, 0x3e903f40, v42
	v_mul_f32_e32 v76, 0xbf75a155, v20
	v_dual_mul_f32 v20, 0x3ed4b147, v20 :: v_dual_fmamk_f32 v95, v26, 0x3ed4b147, v59
	v_mul_f32_e32 v10, 0xbf75a155, v10
	v_dual_add_f32 v30, v16, v12 :: v_dual_mul_f32 v45, 0xbf7d64f0, v31
	v_add_f32_e32 v4, v14, v4
	v_dual_mul_f32 v44, 0xbf68dda4, v29 :: v_dual_add_f32 v5, v5, v7
	s_delay_alu instid0(VALU_DEP_3) | instskip(NEXT) | instid1(VALU_DEP_2)
	v_dual_mul_f32 v56, 0xbf75a155, v17 :: v_dual_fmamk_f32 v97, v30, 0xbf75a155, v61
	v_dual_mul_f32 v66, 0x3ed4b147, v17 :: v_dual_fmamk_f32 v87, v28, 0x3ed4b147, v44
	v_fmamk_f32 v90, v11, 0x3f68dda4, v54
	v_mul_f32_e32 v69, 0xbf7d64f0, v27
	v_dual_fmamk_f32 v103, v25, 0x3f4178ce, v68 :: v_dual_fmamk_f32 v108, v11, 0x3f4178ce, v73
	v_fmac_f32_e32 v73, 0xbf4178ce, v11
	v_dual_mul_f32 v17, 0xbf27a4f4, v17 :: v_dual_fmamk_f32 v96, v28, 0xbf27a4f4, v60
	v_add_f32_e32 v95, v6, v95
	v_fmamk_f32 v113, v11, 0x3e903f40, v10
	v_mul_f32_e32 v78, 0xbf4178ce, v27
	v_dual_mul_f32 v27, 0xbe903f40, v27 :: v_dual_fmamk_f32 v100, v15, 0xbe903f40, v65
	v_fmac_f32_e32 v10, 0xbe903f40, v11
	v_dual_add_f32 v32, v8, v1 :: v_dual_mul_f32 v47, 0xbe903f40, v35
	v_dual_mul_f32 v79, 0x3f7d64f0, v29 :: v_dual_add_f32 v108, v14, v108
	v_mul_f32_e32 v23, 0xbe11bafb, v23
	s_delay_alu instid0(VALU_DEP_4)
	v_dual_fmamk_f32 v7, v11, 0x3f0a6770, v36 :: v_dual_add_f32 v10, v14, v10
	v_mul_f32_e32 v72, 0xbf0a6770, v33
	v_fmamk_f32 v86, v26, 0x3f575c64, v43
	v_dual_fmamk_f32 v88, v30, 0xbe11bafb, v45 :: v_dual_add_f32 v5, v5, v12
	v_fmac_f32_e32 v36, 0xbf0a6770, v11
	v_fmamk_f32 v99, v11, 0x3f7d64f0, v64
	v_mul_f32_e32 v74, 0xbe11bafb, v13
	v_mul_f32_e32 v13, 0x3f575c64, v13
	v_fmamk_f32 v114, v26, 0xbf75a155, v27
	v_fma_f32 v27, 0xbf75a155, v26, -v27
	v_dual_sub_f32 v19, v12, v16 :: v_dual_mul_f32 v62, 0x3f7d64f0, v33
	v_dual_mul_f32 v63, 0x3f0a6770, v35 :: v_dual_add_f32 v4, v4, v40
	v_dual_mul_f32 v71, 0x3f68dda4, v31 :: v_dual_fmamk_f32 v40, v15, 0x3f68dda4, v37
	v_dual_fmamk_f32 v93, v21, 0xbf7d64f0, v57 :: v_dual_fmac_f32 v64, 0xbf7d64f0, v11
	v_add_f32_e32 v7, v14, v7
	v_dual_fmamk_f32 v107, v32, 0x3f575c64, v72 :: v_dual_add_f32 v86, v6, v86
	v_add_f32_e32 v99, v14, v99
	v_dual_fmac_f32 v54, 0xbf68dda4, v11 :: v_dual_add_f32 v113, v14, v113
	v_dual_fmamk_f32 v11, v26, 0xbf27a4f4, v78 :: v_dual_add_f32 v4, v4, v49
	v_fma_f32 v78, 0xbf27a4f4, v26, -v78
	v_fma_f32 v59, 0x3ed4b147, v26, -v59
	v_add_f32_e32 v27, v6, v27
	v_add_f32_e32 v90, v14, v90
	v_dual_fmamk_f32 v104, v26, 0xbe11bafb, v69 :: v_dual_add_f32 v1, v5, v1
	v_fmamk_f32 v109, v15, 0xbf7d64f0, v74
	v_fma_f32 v69, 0xbe11bafb, v26, -v69
	v_fma_f32 v26, 0x3f575c64, v26, -v43
	s_delay_alu instid0(VALU_DEP_4)
	v_add_f32_e32 v104, v6, v104
	v_mul_f32_e32 v46, 0xbf4178ce, v33
	v_dual_mul_f32 v80, 0xbf0a6770, v31 :: v_dual_add_f32 v73, v14, v73
	v_dual_mul_f32 v29, 0x3f0a6770, v29 :: v_dual_fmamk_f32 v102, v21, 0x3f0a6770, v67
	v_fmamk_f32 v83, v19, 0x3f7d64f0, v38
	v_dual_fmamk_f32 v84, v21, 0x3f4178ce, v41 :: v_dual_add_f32 v11, v6, v11
	v_dual_fmamk_f32 v94, v25, 0xbf0a6770, v58 :: v_dual_add_f32 v69, v6, v69
	;; [unrolled: 1-line block ×3, first 2 shown]
	v_fmamk_f32 v105, v28, 0xbf75a155, v70
	v_dual_fmamk_f32 v106, v30, 0x3ed4b147, v71 :: v_dual_add_f32 v5, v7, v40
	v_dual_fmamk_f32 v110, v19, 0x3f0a6770, v75 :: v_dual_add_f32 v7, v86, v87
	v_dual_add_f32 v78, v6, v78 :: v_dual_fmamk_f32 v115, v15, 0xbf0a6770, v13
	v_fmac_f32_e32 v13, 0x3f0a6770, v15
	v_add_f32_e32 v87, v108, v109
	v_dual_fmamk_f32 v111, v21, 0x3e903f40, v76 :: v_dual_add_f32 v114, v6, v114
	v_dual_add_f32 v6, v6, v26 :: v_dual_mul_f32 v81, 0xbe903f40, v33
	v_fmamk_f32 v92, v19, 0xbe903f40, v56
	v_dual_mul_f32 v82, 0x3f68dda4, v35 :: v_dual_mul_f32 v33, 0x3f68dda4, v33
	v_mul_f32_e32 v31, 0xbf4178ce, v31
	v_dual_fmamk_f32 v89, v32, 0xbf27a4f4, v46 :: v_dual_add_f32 v64, v14, v64
	v_dual_fmamk_f32 v101, v19, 0xbf68dda4, v66 :: v_dual_fmamk_f32 v112, v25, 0xbf68dda4, v77
	v_dual_fmamk_f32 v43, v30, 0x3f575c64, v80 :: v_dual_add_f32 v4, v4, v51
	v_dual_fmac_f32 v74, 0x3f7d64f0, v15 :: v_dual_fmac_f32 v57, 0x3f7d64f0, v21
	v_dual_fmac_f32 v65, 0x3e903f40, v15 :: v_dual_add_f32 v86, v104, v105
	v_dual_fmac_f32 v37, 0xbf68dda4, v15 :: v_dual_add_f32 v10, v10, v13
	v_dual_fmac_f32 v66, 0x3f68dda4, v19 :: v_dual_fmac_f32 v77, 0x3f68dda4, v25
	v_fmac_f32_e32 v56, 0x3e903f40, v19
	v_fmac_f32_e32 v38, 0xbf7d64f0, v19
	;; [unrolled: 1-line block ×6, first 2 shown]
	v_fma_f32 v70, 0xbf75a155, v28, -v70
	v_fmac_f32_e32 v58, 0x3f0a6770, v25
	v_fma_f32 v60, 0xbf27a4f4, v28, -v60
	v_dual_fmac_f32 v42, 0xbe903f40, v25 :: v_dual_add_f32 v51, v99, v100
	v_dual_fmamk_f32 v91, v15, 0x3f4178ce, v55 :: v_dual_add_f32 v54, v14, v54
	v_dual_add_f32 v14, v14, v36 :: v_dual_fmac_f32 v55, 0xbf4178ce, v15
	s_delay_alu instid0(VALU_DEP_2) | instskip(SKIP_1) | instid1(VALU_DEP_3)
	v_dual_fmamk_f32 v15, v19, 0x3f4178ce, v17 :: v_dual_add_f32 v40, v90, v91
	v_dual_fmac_f32 v17, 0xbf4178ce, v19 :: v_dual_add_f32 v64, v64, v65
	v_dual_fmac_f32 v75, 0xbf0a6770, v19 :: v_dual_add_f32 v14, v14, v37
	s_delay_alu instid0(VALU_DEP_4)
	v_dual_fmamk_f32 v19, v21, 0xbf68dda4, v20 :: v_dual_add_f32 v54, v54, v55
	v_fmac_f32_e32 v20, 0x3f68dda4, v21
	v_dual_fmamk_f32 v21, v25, 0x3f7d64f0, v23 :: v_dual_add_f32 v4, v4, v53
	v_fmac_f32_e32 v23, 0xbf7d64f0, v25
	v_dual_fmamk_f32 v25, v28, 0x3f575c64, v29 :: v_dual_add_f32 v0, v1, v0
	v_fmamk_f32 v36, v28, 0xbe11bafb, v79
	v_fma_f32 v29, 0x3f575c64, v28, -v29
	v_fma_f32 v79, 0xbe11bafb, v28, -v79
	s_delay_alu instid0(VALU_DEP_4) | instskip(NEXT) | instid1(VALU_DEP_4)
	v_dual_add_f32 v25, v114, v25 :: v_dual_fmamk_f32 v26, v32, 0xbf75a155, v81
	v_add_f32_e32 v11, v11, v36
	v_fma_f32 v28, 0x3ed4b147, v28, -v44
	v_dual_fmamk_f32 v44, v30, 0xbf27a4f4, v31 :: v_dual_add_f32 v1, v5, v83
	v_fma_f32 v31, 0xbf27a4f4, v30, -v31
	v_fma_f32 v80, 0x3f575c64, v30, -v80
	;; [unrolled: 1-line block ×5, first 2 shown]
	v_fmamk_f32 v45, v32, 0x3ed4b147, v33
	v_fma_f32 v33, 0x3ed4b147, v32, -v33
	v_fma_f32 v81, 0xbf75a155, v32, -v81
	;; [unrolled: 1-line block ×5, first 2 shown]
	v_dual_mul_f32 v46, 0xbf7d64f0, v35 :: v_dual_add_f32 v5, v7, v88
	v_mul_f32_e32 v35, 0xbf4178ce, v35
	v_dual_fmamk_f32 v49, v34, 0x3ed4b147, v82 :: v_dual_add_f32 v4, v52, v4
	s_delay_alu instid0(VALU_DEP_3)
	v_dual_fmamk_f32 v12, v34, 0xbe11bafb, v46 :: v_dual_add_f32 v7, v40, v92
	v_fma_f32 v46, 0xbe11bafb, v34, -v46
	v_fma_f32 v82, 0x3ed4b147, v34, -v82
	v_dual_fmamk_f32 v117, v34, 0x3f575c64, v63 :: v_dual_add_f32 v0, v9, v0
	v_fma_f32 v63, 0x3f575c64, v34, -v63
	v_dual_fmamk_f32 v118, v34, 0xbf75a155, v47 :: v_dual_add_f32 v13, v27, v29
	v_add_f32_e32 v27, v73, v74
	v_add_f32_e32 v29, v78, v79
	;; [unrolled: 1-line block ×4, first 2 shown]
	v_dual_fmamk_f32 v116, v34, 0xbf27a4f4, v35 :: v_dual_add_f32 v37, v51, v101
	v_fma_f32 v35, 0xbf27a4f4, v34, -v35
	v_fma_f32 v34, 0xbf75a155, v34, -v47
	v_dual_add_f32 v47, v95, v96 :: v_dual_add_f32 v36, v113, v115
	v_add_f32_e32 v65, v69, v70
	v_add_f32_e32 v55, v59, v60
	v_dual_add_f32 v11, v11, v43 :: v_dual_add_f32 v10, v10, v17
	s_delay_alu instid0(VALU_DEP_4)
	v_dual_add_f32 v28, v47, v97 :: v_dual_add_f32 v13, v13, v31
	v_dual_add_f32 v6, v6, v30 :: v_dual_add_f32 v17, v27, v75
	;; [unrolled: 1-line block ×6, first 2 shown]
	v_add_f32_e32 v31, v65, v71
	v_dual_add_f32 v43, v55, v61 :: v_dual_add_f32 v32, v6, v32
	v_dual_add_f32 v9, v28, v98 :: v_dual_add_f32 v6, v30, v116
	v_add_f32_e32 v11, v11, v26
	v_dual_add_f32 v26, v27, v81 :: v_dual_add_f32 v1, v1, v84
	v_dual_add_f32 v5, v5, v89 :: v_dual_add_f32 v38, v50, v4
	;; [unrolled: 1-line block ×3, first 2 shown]
	v_add_f32_e32 v15, v15, v19
	v_add_f32_e32 v19, v25, v45
	;; [unrolled: 1-line block ×6, first 2 shown]
	v_dual_add_f32 v14, v26, v82 :: v_dual_add_f32 v25, v13, v33
	v_add_f32_e32 v10, v19, v12
	v_add_f32_e32 v47, v87, v110
	v_add_f32_e32 v28, v37, v102
	v_add_f32_e32 v4, v9, v117
	v_dual_add_f32 v17, v17, v76 :: v_dual_add_f32 v8, v11, v49
	v_dual_add_f32 v13, v20, v23 :: v_dual_add_f32 v12, v25, v46
	;; [unrolled: 1-line block ×3, first 2 shown]
	v_add_f32_e32 v21, v16, v40
	v_dual_add_f32 v37, v47, v111 :: v_dual_add_f32 v0, v5, v118
	v_add_f32_e32 v15, v17, v77
	s_delay_alu instid0(VALU_DEP_3) | instskip(SKIP_1) | instid1(VALU_DEP_4)
	v_dual_add_f32 v23, v24, v20 :: v_dual_add_f32 v24, v18, v21
	v_add_f32_e32 v33, v43, v62
	v_add_f32_e32 v9, v37, v112
	v_dual_add_f32 v1, v1, v85 :: v_dual_add_f32 v20, v32, v34
	s_delay_alu instid0(VALU_DEP_4) | instskip(NEXT) | instid1(VALU_DEP_4)
	v_dual_add_f32 v23, v39, v23 :: v_dual_add_f32 v22, v22, v24
	v_dual_add_f32 v5, v7, v94 :: v_dual_add_f32 v18, v33, v63
	v_add_f32_e32 v7, v28, v103
	v_dual_add_f32 v17, v27, v68 :: v_dual_add_f32 v16, v29, v35
	v_add_f32_e32 v19, v31, v58
	v_add_f32_e32 v21, v36, v42
	s_clause 0xa
	global_store_b64 v[2:3], v[14:15], off offset:5824
	global_store_b64 v[2:3], v[12:13], off offset:7280
	;; [unrolled: 1-line block ×4, first 2 shown]
	global_store_b64 v[2:3], v[22:23], off
	global_store_b64 v[2:3], v[20:21], off offset:1456
	global_store_b64 v[2:3], v[18:19], off offset:2912
	global_store_b64 v[2:3], v[16:17], off offset:4368
	global_store_b64 v[2:3], v[6:7], off offset:11648
	global_store_b64 v[2:3], v[4:5], off offset:13104
	global_store_b64 v[2:3], v[0:1], off offset:14560
.LBB0_37:
	s_nop 0
	s_sendmsg sendmsg(MSG_DEALLOC_VGPRS)
	s_endpgm
	.section	.rodata,"a",@progbits
	.p2align	6, 0x0
	.amdhsa_kernel fft_rtc_fwd_len2002_factors_2_13_7_11_wgs_182_tpt_182_halfLds_sp_op_CI_CI_unitstride_sbrr_dirReg
		.amdhsa_group_segment_fixed_size 0
		.amdhsa_private_segment_fixed_size 0
		.amdhsa_kernarg_size 104
		.amdhsa_user_sgpr_count 2
		.amdhsa_user_sgpr_dispatch_ptr 0
		.amdhsa_user_sgpr_queue_ptr 0
		.amdhsa_user_sgpr_kernarg_segment_ptr 1
		.amdhsa_user_sgpr_dispatch_id 0
		.amdhsa_user_sgpr_private_segment_size 0
		.amdhsa_wavefront_size32 1
		.amdhsa_uses_dynamic_stack 0
		.amdhsa_enable_private_segment 0
		.amdhsa_system_sgpr_workgroup_id_x 1
		.amdhsa_system_sgpr_workgroup_id_y 0
		.amdhsa_system_sgpr_workgroup_id_z 0
		.amdhsa_system_sgpr_workgroup_info 0
		.amdhsa_system_vgpr_workitem_id 0
		.amdhsa_next_free_vgpr 119
		.amdhsa_next_free_sgpr 39
		.amdhsa_reserve_vcc 1
		.amdhsa_float_round_mode_32 0
		.amdhsa_float_round_mode_16_64 0
		.amdhsa_float_denorm_mode_32 3
		.amdhsa_float_denorm_mode_16_64 3
		.amdhsa_fp16_overflow 0
		.amdhsa_workgroup_processor_mode 1
		.amdhsa_memory_ordered 1
		.amdhsa_forward_progress 0
		.amdhsa_round_robin_scheduling 0
		.amdhsa_exception_fp_ieee_invalid_op 0
		.amdhsa_exception_fp_denorm_src 0
		.amdhsa_exception_fp_ieee_div_zero 0
		.amdhsa_exception_fp_ieee_overflow 0
		.amdhsa_exception_fp_ieee_underflow 0
		.amdhsa_exception_fp_ieee_inexact 0
		.amdhsa_exception_int_div_zero 0
	.end_amdhsa_kernel
	.text
.Lfunc_end0:
	.size	fft_rtc_fwd_len2002_factors_2_13_7_11_wgs_182_tpt_182_halfLds_sp_op_CI_CI_unitstride_sbrr_dirReg, .Lfunc_end0-fft_rtc_fwd_len2002_factors_2_13_7_11_wgs_182_tpt_182_halfLds_sp_op_CI_CI_unitstride_sbrr_dirReg
                                        ; -- End function
	.section	.AMDGPU.csdata,"",@progbits
; Kernel info:
; codeLenInByte = 10976
; NumSgprs: 41
; NumVgprs: 119
; ScratchSize: 0
; MemoryBound: 0
; FloatMode: 240
; IeeeMode: 1
; LDSByteSize: 0 bytes/workgroup (compile time only)
; SGPRBlocks: 5
; VGPRBlocks: 14
; NumSGPRsForWavesPerEU: 41
; NumVGPRsForWavesPerEU: 119
; Occupancy: 12
; WaveLimiterHint : 1
; COMPUTE_PGM_RSRC2:SCRATCH_EN: 0
; COMPUTE_PGM_RSRC2:USER_SGPR: 2
; COMPUTE_PGM_RSRC2:TRAP_HANDLER: 0
; COMPUTE_PGM_RSRC2:TGID_X_EN: 1
; COMPUTE_PGM_RSRC2:TGID_Y_EN: 0
; COMPUTE_PGM_RSRC2:TGID_Z_EN: 0
; COMPUTE_PGM_RSRC2:TIDIG_COMP_CNT: 0
	.text
	.p2alignl 7, 3214868480
	.fill 96, 4, 3214868480
	.type	__hip_cuid_1a5a97dc80eed82e,@object ; @__hip_cuid_1a5a97dc80eed82e
	.section	.bss,"aw",@nobits
	.globl	__hip_cuid_1a5a97dc80eed82e
__hip_cuid_1a5a97dc80eed82e:
	.byte	0                               ; 0x0
	.size	__hip_cuid_1a5a97dc80eed82e, 1

	.ident	"AMD clang version 19.0.0git (https://github.com/RadeonOpenCompute/llvm-project roc-6.4.0 25133 c7fe45cf4b819c5991fe208aaa96edf142730f1d)"
	.section	".note.GNU-stack","",@progbits
	.addrsig
	.addrsig_sym __hip_cuid_1a5a97dc80eed82e
	.amdgpu_metadata
---
amdhsa.kernels:
  - .args:
      - .actual_access:  read_only
        .address_space:  global
        .offset:         0
        .size:           8
        .value_kind:     global_buffer
      - .offset:         8
        .size:           8
        .value_kind:     by_value
      - .actual_access:  read_only
        .address_space:  global
        .offset:         16
        .size:           8
        .value_kind:     global_buffer
      - .actual_access:  read_only
        .address_space:  global
        .offset:         24
        .size:           8
        .value_kind:     global_buffer
      - .actual_access:  read_only
        .address_space:  global
        .offset:         32
        .size:           8
        .value_kind:     global_buffer
      - .offset:         40
        .size:           8
        .value_kind:     by_value
      - .actual_access:  read_only
        .address_space:  global
        .offset:         48
        .size:           8
        .value_kind:     global_buffer
      - .actual_access:  read_only
        .address_space:  global
        .offset:         56
        .size:           8
        .value_kind:     global_buffer
      - .offset:         64
        .size:           4
        .value_kind:     by_value
      - .actual_access:  read_only
        .address_space:  global
        .offset:         72
        .size:           8
        .value_kind:     global_buffer
      - .actual_access:  read_only
        .address_space:  global
        .offset:         80
        .size:           8
        .value_kind:     global_buffer
      - .actual_access:  read_only
        .address_space:  global
        .offset:         88
        .size:           8
        .value_kind:     global_buffer
      - .actual_access:  write_only
        .address_space:  global
        .offset:         96
        .size:           8
        .value_kind:     global_buffer
    .group_segment_fixed_size: 0
    .kernarg_segment_align: 8
    .kernarg_segment_size: 104
    .language:       OpenCL C
    .language_version:
      - 2
      - 0
    .max_flat_workgroup_size: 182
    .name:           fft_rtc_fwd_len2002_factors_2_13_7_11_wgs_182_tpt_182_halfLds_sp_op_CI_CI_unitstride_sbrr_dirReg
    .private_segment_fixed_size: 0
    .sgpr_count:     41
    .sgpr_spill_count: 0
    .symbol:         fft_rtc_fwd_len2002_factors_2_13_7_11_wgs_182_tpt_182_halfLds_sp_op_CI_CI_unitstride_sbrr_dirReg.kd
    .uniform_work_group_size: 1
    .uses_dynamic_stack: false
    .vgpr_count:     119
    .vgpr_spill_count: 0
    .wavefront_size: 32
    .workgroup_processor_mode: 1
amdhsa.target:   amdgcn-amd-amdhsa--gfx1201
amdhsa.version:
  - 1
  - 2
...

	.end_amdgpu_metadata
